;; amdgpu-corpus repo=pytorch/pytorch kind=compiled arch=gfx90a opt=O3
	.text
	.amdgcn_target "amdgcn-amd-amdhsa--gfx90a"
	.amdhsa_code_object_version 6
	.p2align	2                               ; -- Begin function _ZN2at6native25elementwise_kernel_helperILb0EZZZNS0_12_GLOBAL__N_137scaled_modified_bessel_k0_kernel_cudaERNS_18TensorIteratorBaseEENKUlvE_clEvENKUlvE_clEvEUldE_NS0_6memory8policies11unroll_baseILi256ESt5arrayIPcLm2EE23TrivialOffsetCalculatorILi1EjESF_NS8_15LoadWithoutCastENS8_16StoreWithoutCastELi4ELi1EEEEEvT0_T1_
	.type	_ZN2at6native25elementwise_kernel_helperILb0EZZZNS0_12_GLOBAL__N_137scaled_modified_bessel_k0_kernel_cudaERNS_18TensorIteratorBaseEENKUlvE_clEvENKUlvE_clEvEUldE_NS0_6memory8policies11unroll_baseILi256ESt5arrayIPcLm2EE23TrivialOffsetCalculatorILi1EjESF_NS8_15LoadWithoutCastENS8_16StoreWithoutCastELi4ELi1EEEEEvT0_T1_,@function
_ZN2at6native25elementwise_kernel_helperILb0EZZZNS0_12_GLOBAL__N_137scaled_modified_bessel_k0_kernel_cudaERNS_18TensorIteratorBaseEENKUlvE_clEvENKUlvE_clEvEUldE_NS0_6memory8policies11unroll_baseILi256ESt5arrayIPcLm2EE23TrivialOffsetCalculatorILi1EjESF_NS8_15LoadWithoutCastENS8_16StoreWithoutCastELi4ELi1EEEEEvT0_T1_: ; @_ZN2at6native25elementwise_kernel_helperILb0EZZZNS0_12_GLOBAL__N_137scaled_modified_bessel_k0_kernel_cudaERNS_18TensorIteratorBaseEENKUlvE_clEvENKUlvE_clEvEUldE_NS0_6memory8policies11unroll_baseILi256ESt5arrayIPcLm2EE23TrivialOffsetCalculatorILi1EjESF_NS8_15LoadWithoutCastENS8_16StoreWithoutCastELi4ELi1EEEEEvT0_T1_
; %bb.0:
	s_waitcnt vmcnt(0) expcnt(0) lgkmcnt(0)
	v_and_b32_e32 v5, 0x3ff, v31
	s_lshl_b32 s16, s12, 10
	v_pk_mov_b32 v[20:21], 0, 0
	v_cmp_lt_i32_e64 s[4:5], v5, v4
	v_or_b32_e32 v14, s16, v5
	v_pk_mov_b32 v[22:23], v[20:21], v[20:21] op_sel:[0,1]
	v_mov_b32_e32 v6, v5
	s_and_saveexec_b64 s[6:7], s[4:5]
	s_cbranch_execz .LBB0_2
; %bb.1:
	v_mov_b32_e32 v15, 0
	v_lshlrev_b64 v[6:7], 3, v[14:15]
	v_add_co_u32_e32 v6, vcc, v2, v6
	v_addc_co_u32_e32 v7, vcc, v3, v7, vcc
	flat_load_dwordx2 v[22:23], v[6:7]
	v_add_u32_e32 v6, 0x100, v5
.LBB0_2:
	s_or_b64 exec, exec, s[6:7]
	v_cmp_lt_i32_e32 vcc, v6, v4
	s_and_saveexec_b64 s[6:7], vcc
	s_cbranch_execz .LBB0_4
; %bb.3:
	v_add_u32_e32 v8, s16, v6
	v_mov_b32_e32 v9, 0
	v_lshlrev_b64 v[8:9], 3, v[8:9]
	v_add_co_u32_e32 v8, vcc, v2, v8
	v_addc_co_u32_e32 v9, vcc, v3, v9, vcc
	flat_load_dwordx2 v[20:21], v[8:9]
	v_add_u32_e32 v6, 0x100, v6
.LBB0_4:
	s_or_b64 exec, exec, s[6:7]
	v_pk_mov_b32 v[16:17], 0, 0
	v_cmp_lt_i32_e32 vcc, v6, v4
	v_pk_mov_b32 v[18:19], v[16:17], v[16:17] op_sel:[0,1]
	s_and_saveexec_b64 s[6:7], vcc
	s_cbranch_execnz .LBB0_7
; %bb.5:
	s_or_b64 exec, exec, s[6:7]
	v_cmp_lt_i32_e32 vcc, v6, v4
	s_and_saveexec_b64 s[6:7], vcc
	s_cbranch_execnz .LBB0_8
.LBB0_6:
	s_or_b64 exec, exec, s[6:7]
                                        ; implicit-def: $vgpr6_vgpr7_vgpr8_vgpr9_vgpr10_vgpr11_vgpr12_vgpr13
	s_and_saveexec_b64 s[6:7], s[4:5]
	s_cbranch_execnz .LBB0_9
	s_branch .LBB0_22
.LBB0_7:
	v_add_u32_e32 v8, s16, v6
	v_mov_b32_e32 v9, 0
	v_lshlrev_b64 v[8:9], 3, v[8:9]
	v_add_co_u32_e32 v8, vcc, v2, v8
	v_addc_co_u32_e32 v9, vcc, v3, v9, vcc
	flat_load_dwordx2 v[18:19], v[8:9]
	v_add_u32_e32 v6, 0x100, v6
	s_or_b64 exec, exec, s[6:7]
	v_cmp_lt_i32_e32 vcc, v6, v4
	s_and_saveexec_b64 s[6:7], vcc
	s_cbranch_execz .LBB0_6
.LBB0_8:
	v_add_u32_e32 v6, s16, v6
	v_mov_b32_e32 v7, 0
	v_lshlrev_b64 v[6:7], 3, v[6:7]
	v_add_co_u32_e32 v2, vcc, v2, v6
	v_addc_co_u32_e32 v3, vcc, v3, v7, vcc
	flat_load_dwordx2 v[16:17], v[2:3]
	s_or_b64 exec, exec, s[6:7]
                                        ; implicit-def: $vgpr6_vgpr7_vgpr8_vgpr9_vgpr10_vgpr11_vgpr12_vgpr13
	s_and_saveexec_b64 s[6:7], s[4:5]
	s_cbranch_execz .LBB0_22
.LBB0_9:
	v_mov_b32_e32 v6, 0
	s_waitcnt vmcnt(0) lgkmcnt(0)
	v_cmp_neq_f64_e32 vcc, 0, v[22:23]
	v_mov_b32_e32 v7, 0x7ff00000
	s_and_saveexec_b64 s[8:9], vcc
	s_cbranch_execz .LBB0_21
; %bb.10:
	v_mov_b32_e32 v6, 0
	v_cmp_ngt_f64_e32 vcc, 0, v[22:23]
	v_mov_b32_e32 v7, 0x7ff80000
	s_and_saveexec_b64 s[10:11], vcc
	s_cbranch_execz .LBB0_20
; %bb.11:
	v_cmp_ge_f64_e32 vcc, 2.0, v[22:23]
                                        ; implicit-def: $vgpr6_vgpr7
	s_and_saveexec_b64 s[12:13], vcc
	s_xor_b64 s[12:13], exec, s[12:13]
	s_cbranch_execz .LBB0_17
; %bb.12:
	s_mov_b32 s14, 0
	s_mov_b32 s15, 0x40200000
	v_mul_f64 v[2:3], v[22:23], 0.5
	v_cmp_ge_f64_e32 vcc, s[14:15], v[22:23]
                                        ; implicit-def: $vgpr8_vgpr9
                                        ; implicit-def: $vgpr6_vgpr7
	s_and_saveexec_b64 s[14:15], vcc
	s_xor_b64 s[14:15], exec, s[14:15]
	s_cbranch_execz .LBB0_14
; %bb.13:
	s_mov_b32 s18, 0x2134d0ef
	v_add_f64 v[6:7], v[2:3], -2.0
	v_mov_b32_e32 v8, 0x977da589
	v_mov_b32_e32 v9, 0x3c833362
	s_mov_b32 s19, 0xbc545cb7
	v_fmac_f64_e32 v[8:9], s[18:19], v[6:7]
	v_mov_b32_e32 v10, 0x2134d0ef
	v_mov_b32_e32 v11, 0x3c545cb7
	s_mov_b32 s18, 0x721ebbb4
	v_fmac_f64_e32 v[10:11], v[6:7], v[8:9]
	s_mov_b32 s19, 0xbcb184eb
	v_add_f64 v[10:11], v[10:11], s[18:19]
	s_mov_b32 s18, 0x93f65eba
	v_fma_f64 v[8:9], v[6:7], v[10:11], -v[8:9]
	s_mov_b32 s19, 0x3cdee6d8
	v_add_f64 v[8:9], v[8:9], s[18:19]
	s_mov_b32 s18, 0xc297fbeb
	v_fma_f64 v[10:11], v[6:7], v[8:9], -v[10:11]
	;; [unrolled: 4-line block ×27, first 2 shown]
	s_mov_b32 s19, 0x3fe5a84e
	v_add_f64 v[10:11], v[6:7], s[18:19]
	s_mov_b32 s18, 0x652b82fe
	s_mov_b32 s19, 0x3ff71547
	v_mul_f64 v[6:7], v[22:23], s[18:19]
	s_mov_b32 s18, 0xfefa39ef
	v_rndne_f64_e32 v[6:7], v[6:7]
	s_mov_b32 s19, 0xbfe62e42
	v_fma_f64 v[12:13], s[18:19], v[6:7], v[22:23]
	s_mov_b32 s18, 0x3b39803f
	s_mov_b32 s19, 0xbc7abc9e
	v_fmac_f64_e32 v[12:13], s[18:19], v[6:7]
	s_mov_b32 s18, 0x6a5dcb37
	v_mov_b32_e32 v24, 0xfca7ab0c
	v_mov_b32_e32 v25, 0x3e928af3
	s_mov_b32 s19, 0x3e5ade15
	v_fmac_f64_e32 v[24:25], s[18:19], v[12:13]
	v_mov_b32_e32 v26, 0x623fde64
	v_mov_b32_e32 v27, 0x3ec71dee
	v_fmac_f64_e32 v[26:27], v[12:13], v[24:25]
	v_mov_b32_e32 v24, 0x7c89e6b0
	v_mov_b32_e32 v25, 0x3efa0199
	;; [unrolled: 3-line block ×8, first 2 shown]
	v_fmac_f64_e32 v[24:25], v[12:13], v[26:27]
	v_fma_f64 v[24:25], v[12:13], v[24:25], 1.0
	s_mov_b32 s18, 0
	v_fma_f64 v[12:13], v[12:13], v[24:25], 1.0
	v_cvt_i32_f64_e32 v6, v[6:7]
	s_mov_b32 s19, 0x40900000
	v_ldexp_f64 v[6:7], v[12:13], v6
	v_mov_b32_e32 v12, 0x7ff00000
	v_cmp_nlt_f64_e32 vcc, s[18:19], v[22:23]
	v_add_f64 v[8:9], v[10:11], -v[8:9]
	v_cndmask_b32_e32 v7, v12, v7, vcc
	v_cndmask_b32_e32 v6, 0, v6, vcc
	v_mul_f64 v[8:9], v[8:9], 0.5
	v_mul_f64 v[8:9], v[6:7], v[8:9]
.LBB0_14:
	s_andn2_saveexec_b64 s[14:15], s[14:15]
	s_cbranch_execz .LBB0_16
; %bb.15:
	s_mov_b32 s18, 0
	s_mov_b32 s19, 0x40400000
	v_div_scale_f64 v[6:7], s[20:21], v[22:23], v[22:23], s[18:19]
	v_rcp_f64_e32 v[8:9], v[6:7]
	v_mov_b32_e32 v24, 0xfca7ab0c
	v_mov_b32_e32 v25, 0x3e928af3
	v_mov_b32_e32 v26, 0x623fde64
	v_fma_f64 v[10:11], -v[6:7], v[8:9], 1.0
	v_fmac_f64_e32 v[8:9], v[8:9], v[10:11]
	v_fma_f64 v[10:11], -v[6:7], v[8:9], 1.0
	v_fmac_f64_e32 v[8:9], v[8:9], v[10:11]
	v_div_scale_f64 v[10:11], vcc, s[18:19], v[22:23], s[18:19]
	v_mul_f64 v[12:13], v[10:11], v[8:9]
	v_fma_f64 v[6:7], -v[6:7], v[12:13], v[10:11]
	v_mov_b32_e32 v10, 0x54ca8b19
	s_nop 0
	v_div_fmas_f64 v[6:7], v[6:7], v[8:9], v[12:13]
	v_div_fixup_f64 v[6:7], v[6:7], v[22:23], s[18:19]
	s_mov_b32 s18, 0x54ca8b19
	v_add_f64 v[6:7], v[6:7], -2.0
	v_mov_b32_e32 v8, 0x66119130
	v_mov_b32_e32 v9, 0xbc5646da
	s_mov_b32 s19, 0xbc60adb7
	v_fmac_f64_e32 v[8:9], s[18:19], v[6:7]
	v_mov_b32_e32 v11, 0x3c60adb7
	s_mov_b32 s18, 0x12d98421
	v_fmac_f64_e32 v[10:11], v[6:7], v[8:9]
	s_mov_b32 s19, 0x3c89be18
	v_add_f64 v[10:11], v[10:11], s[18:19]
	s_mov_b32 s18, 0x76041cd
	v_fma_f64 v[8:9], v[6:7], v[10:11], -v[8:9]
	s_mov_b32 s19, 0x3c83f3dd
	v_add_f64 v[8:9], v[8:9], s[18:19]
	s_mov_b32 s18, 0xabd21fe4
	v_fma_f64 v[10:11], v[6:7], v[8:9], -v[10:11]
	;; [unrolled: 4-line block ×22, first 2 shown]
	s_mov_b32 s19, 0x3fe9be62
	v_add_f64 v[8:9], v[6:7], s[18:19]
	s_mov_b32 s18, 0x652b82fe
	s_mov_b32 s19, 0x3ff71547
	v_mul_f64 v[6:7], v[22:23], s[18:19]
	s_mov_b32 s18, 0xfefa39ef
	v_rndne_f64_e32 v[6:7], v[6:7]
	s_mov_b32 s19, 0xbfe62e42
	v_fma_f64 v[12:13], s[18:19], v[6:7], v[22:23]
	s_mov_b32 s18, 0x3b39803f
	s_mov_b32 s19, 0xbc7abc9e
	v_fmac_f64_e32 v[12:13], s[18:19], v[6:7]
	s_mov_b32 s18, 0x6a5dcb37
	s_mov_b32 s19, 0x3e5ade15
	v_fmac_f64_e32 v[24:25], s[18:19], v[12:13]
	v_mov_b32_e32 v27, 0x3ec71dee
	v_fmac_f64_e32 v[26:27], v[12:13], v[24:25]
	v_mov_b32_e32 v24, 0x7c89e6b0
	v_mov_b32_e32 v25, 0x3efa0199
	v_fmac_f64_e32 v[24:25], v[12:13], v[26:27]
	v_mov_b32_e32 v26, 0x14761f6e
	;; [unrolled: 3-line block ×7, first 2 shown]
	v_mov_b32_e32 v25, 0x3fe00000
	v_fmac_f64_e32 v[24:25], v[12:13], v[26:27]
	s_mov_b32 s18, 0
	v_fma_f64 v[24:25], v[12:13], v[24:25], 1.0
	s_mov_b32 s19, 0x40900000
	v_fma_f64 v[12:13], v[12:13], v[24:25], 1.0
	v_cvt_i32_f64_e32 v6, v[6:7]
	v_cmp_nlt_f64_e32 vcc, s[18:19], v[22:23]
	s_mov_b32 s18, 0
	v_ldexp_f64 v[6:7], v[12:13], v6
	v_mov_b32_e32 v12, 0x7ff00000
	s_brev_b32 s19, 8
	v_cndmask_b32_e32 v7, v12, v7, vcc
	v_cndmask_b32_e32 v6, 0, v6, vcc
	v_cmp_gt_f64_e32 vcc, s[18:19], v[22:23]
	v_cndmask_b32_e64 v12, 0, 1, vcc
	v_lshlrev_b32_e32 v12, 8, v12
	v_ldexp_f64 v[12:13], v[22:23], v12
	v_rsq_f64_e32 v[24:25], v[12:13]
	v_add_f64 v[8:9], v[8:9], -v[10:11]
	v_mov_b32_e32 v15, 0xffffff80
	v_cndmask_b32_e32 v15, 0, v15, vcc
	v_mul_f64 v[10:11], v[12:13], v[24:25]
	v_mul_f64 v[24:25], v[24:25], 0.5
	v_fma_f64 v[26:27], -v[24:25], v[10:11], 0.5
	v_fmac_f64_e32 v[10:11], v[10:11], v[26:27]
	v_fma_f64 v[28:29], -v[10:11], v[10:11], v[12:13]
	v_fmac_f64_e32 v[24:25], v[24:25], v[26:27]
	v_fmac_f64_e32 v[10:11], v[28:29], v[24:25]
	v_fma_f64 v[26:27], -v[10:11], v[10:11], v[12:13]
	v_fmac_f64_e32 v[10:11], v[26:27], v[24:25]
	v_ldexp_f64 v[10:11], v[10:11], v15
	v_mov_b32_e32 v15, 0x260
	v_mul_f64 v[8:9], v[8:9], 0.5
	v_cmp_class_f64_e32 vcc, v[12:13], v15
	v_mul_f64 v[8:9], v[6:7], v[8:9]
	v_cndmask_b32_e32 v11, v11, v13, vcc
	v_cndmask_b32_e32 v10, v10, v12, vcc
	v_div_scale_f64 v[12:13], s[18:19], v[10:11], v[10:11], v[8:9]
	v_rcp_f64_e32 v[24:25], v[12:13]
	v_fma_f64 v[26:27], -v[12:13], v[24:25], 1.0
	v_fmac_f64_e32 v[24:25], v[24:25], v[26:27]
	v_fma_f64 v[26:27], -v[12:13], v[24:25], 1.0
	v_fmac_f64_e32 v[24:25], v[24:25], v[26:27]
	v_div_scale_f64 v[26:27], vcc, v[8:9], v[10:11], v[8:9]
	v_mul_f64 v[28:29], v[26:27], v[24:25]
	v_fma_f64 v[12:13], -v[12:13], v[28:29], v[26:27]
	s_nop 1
	v_div_fmas_f64 v[12:13], v[12:13], v[24:25], v[28:29]
	v_div_fixup_f64 v[8:9], v[12:13], v[10:11], v[8:9]
.LBB0_16:
	s_or_b64 exec, exec, s[14:15]
	s_mov_b32 s14, 0xe6a7fd77
	v_fma_f64 v[10:11], v[22:23], v[22:23], -2.0
	v_mov_b32_e32 v12, 0xc384c2aa
	v_mov_b32_e32 v13, 0x3d27fb0a
	s_mov_b32 s15, 0x3ca3cee1
	v_fmac_f64_e32 v[12:13], s[14:15], v[10:11]
	v_mov_b32_e32 v22, 0xe6a7fd77
	v_mov_b32_e32 v23, 0xbca3cee1
	s_mov_b32 s14, 0x47512144
	v_fmac_f64_e32 v[22:23], v[10:11], v[12:13]
	s_mov_b32 s15, 0x3da6c25c
	v_add_f64 v[22:23], v[22:23], s[14:15]
	s_mov_b32 s14, 0x67e58a13
	v_fma_f64 v[12:13], v[10:11], v[22:23], -v[12:13]
	s_mov_b32 s15, 0x3e205c13
	v_add_f64 v[12:13], v[12:13], s[14:15]
	s_mov_b32 s14, 0xe7f95efc
	v_fma_f64 v[22:23], v[10:11], v[12:13], -v[22:23]
	;; [unrolled: 4-line block ×7, first 2 shown]
	s_mov_b32 s15, 0xbfe12166
	v_add_f64 v[10:11], v[10:11], s[14:15]
	s_mov_b32 s14, 0x55555555
	v_add_f64 v[10:11], v[10:11], -v[12:13]
	v_frexp_mant_f64_e32 v[12:13], v[2:3]
	s_mov_b32 s15, 0x3fe55555
	v_mov_b32_e32 v22, 0x3ff00000
	v_cmp_gt_f64_e32 vcc, s[14:15], v[12:13]
	v_cndmask_b32_e64 v23, v22, 2.0, vcc
	v_mov_b32_e32 v22, 0
	v_mul_f64 v[12:13], v[12:13], v[22:23]
	v_add_f64 v[22:23], v[12:13], 1.0
	v_rcp_f64_e32 v[24:25], v[22:23]
	v_add_f64 v[28:29], v[22:23], -1.0
	v_add_f64 v[26:27], v[12:13], -1.0
	v_add_f64 v[12:13], v[12:13], -v[28:29]
	v_fma_f64 v[28:29], -v[22:23], v[24:25], 1.0
	v_fmac_f64_e32 v[24:25], v[28:29], v[24:25]
	v_fma_f64 v[28:29], -v[22:23], v[24:25], 1.0
	v_fmac_f64_e32 v[24:25], v[28:29], v[24:25]
	v_mul_f64 v[28:29], v[26:27], v[24:25]
	v_mul_f64 v[30:31], v[22:23], v[28:29]
	v_fma_f64 v[22:23], v[28:29], v[22:23], -v[30:31]
	v_fmac_f64_e32 v[22:23], v[28:29], v[12:13]
	v_add_f64 v[12:13], v[30:31], v[22:23]
	v_add_f64 v[32:33], v[26:27], -v[12:13]
	v_add_f64 v[30:31], v[12:13], -v[30:31]
	;; [unrolled: 1-line block ×5, first 2 shown]
	v_add_f64 v[12:13], v[22:23], v[12:13]
	v_add_f64 v[12:13], v[32:33], v[12:13]
	v_mul_f64 v[12:13], v[24:25], v[12:13]
	v_add_f64 v[22:23], v[28:29], v[12:13]
	v_add_f64 v[24:25], v[22:23], -v[28:29]
	s_mov_b32 s14, 0xbf559e2b
	v_add_f64 v[12:13], v[12:13], -v[24:25]
	v_mul_f64 v[24:25], v[22:23], v[22:23]
	v_mov_b32_e32 v26, 0x6b47b09a
	v_mov_b32_e32 v27, 0x3fc38538
	s_mov_b32 s15, 0x3fc3ab76
	v_fmac_f64_e32 v[26:27], s[14:15], v[24:25]
	v_mov_b32_e32 v28, 0xd7f4df2e
	v_mov_b32_e32 v29, 0x3fc7474d
	v_fmac_f64_e32 v[28:29], v[24:25], v[26:27]
	v_mov_b32_e32 v26, 0x16291751
	v_mov_b32_e32 v27, 0x3fcc71c0
	;; [unrolled: 3-line block ×5, first 2 shown]
	v_fmac_f64_e32 v[28:29], v[24:25], v[26:27]
	v_ldexp_f64 v[26:27], v[22:23], 1
	v_mul_f64 v[22:23], v[22:23], v[24:25]
	v_mul_f64 v[22:23], v[22:23], v[28:29]
	v_add_f64 v[24:25], v[26:27], v[22:23]
	v_add_f64 v[26:27], v[24:25], -v[26:27]
	v_ldexp_f64 v[12:13], v[12:13], 1
	v_add_f64 v[22:23], v[22:23], -v[26:27]
	v_add_f64 v[12:13], v[12:13], v[22:23]
	v_frexp_exp_i32_f64_e32 v15, v[2:3]
	v_add_f64 v[22:23], v[24:25], v[12:13]
	v_subbrev_co_u32_e32 v15, vcc, 0, v15, vcc
	v_add_f64 v[24:25], v[22:23], -v[24:25]
	s_mov_b32 s14, 0xfefa39ef
	v_add_f64 v[12:13], v[12:13], -v[24:25]
	v_cvt_f64_i32_e32 v[24:25], v15
	s_mov_b32 s15, 0x3fe62e42
	v_mul_f64 v[26:27], v[24:25], s[14:15]
	v_fma_f64 v[28:29], v[24:25], s[14:15], -v[26:27]
	s_mov_b32 s14, 0x3b39803f
	s_mov_b32 s15, 0x3c7abc9e
	v_fmac_f64_e32 v[28:29], s[14:15], v[24:25]
	v_add_f64 v[24:25], v[26:27], v[28:29]
	v_add_f64 v[26:27], v[24:25], -v[26:27]
	v_add_f64 v[26:27], v[28:29], -v[26:27]
	v_add_f64 v[28:29], v[24:25], v[22:23]
	v_add_f64 v[30:31], v[28:29], -v[24:25]
	v_add_f64 v[32:33], v[28:29], -v[30:31]
	;; [unrolled: 1-line block ×4, first 2 shown]
	v_add_f64 v[22:23], v[22:23], v[24:25]
	v_add_f64 v[24:25], v[26:27], v[12:13]
	v_add_f64 v[30:31], v[24:25], -v[26:27]
	v_add_f64 v[32:33], v[24:25], -v[30:31]
	v_add_f64 v[22:23], v[24:25], v[22:23]
	v_add_f64 v[26:27], v[26:27], -v[32:33]
	v_add_f64 v[12:13], v[12:13], -v[30:31]
	v_add_f64 v[24:25], v[28:29], v[22:23]
	v_add_f64 v[12:13], v[12:13], v[26:27]
	v_add_f64 v[26:27], v[24:25], -v[28:29]
	v_add_f64 v[22:23], v[22:23], -v[26:27]
	s_mov_b32 s14, 0
	v_add_f64 v[12:13], v[12:13], v[22:23]
	s_mov_b32 s15, 0x7ff00000
	v_add_f64 v[12:13], v[24:25], v[12:13]
	v_cmp_eq_f64_e32 vcc, s[14:15], v[2:3]
	v_cndmask_b32_e32 v12, v12, v2, vcc
	v_cndmask_b32_e32 v13, v13, v3, vcc
	v_mov_b32_e32 v15, 0xfff00000
	v_cmp_neq_f64_e32 vcc, 0, v[2:3]
	v_cndmask_b32_e32 v3, v15, v13, vcc
	v_cndmask_b32_e32 v2, 0, v12, vcc
	v_mul_f64 v[2:3], v[2:3], v[8:9]
	v_fma_f64 v[2:3], v[10:11], 0.5, -v[2:3]
	v_mul_f64 v[6:7], v[6:7], v[2:3]
                                        ; implicit-def: $vgpr22_vgpr23
.LBB0_17:
	s_andn2_saveexec_b64 s[12:13], s[12:13]
	s_cbranch_execz .LBB0_19
; %bb.18:
	s_mov_b32 s14, 0
	s_mov_b32 s15, 0x40200000
	v_div_scale_f64 v[2:3], s[18:19], v[22:23], v[22:23], s[14:15]
	v_rcp_f64_e32 v[6:7], v[2:3]
	s_mov_b32 s18, 0
	s_brev_b32 s19, 8
	v_fma_f64 v[8:9], -v[2:3], v[6:7], 1.0
	v_fmac_f64_e32 v[6:7], v[6:7], v[8:9]
	v_fma_f64 v[8:9], -v[2:3], v[6:7], 1.0
	v_fmac_f64_e32 v[6:7], v[6:7], v[8:9]
	v_div_scale_f64 v[8:9], vcc, s[14:15], v[22:23], s[14:15]
	v_mul_f64 v[10:11], v[8:9], v[6:7]
	v_fma_f64 v[2:3], -v[2:3], v[10:11], v[8:9]
	v_mov_b32_e32 v8, 0xcf8c9ee1
	s_nop 0
	v_div_fmas_f64 v[2:3], v[2:3], v[6:7], v[10:11]
	v_div_fixup_f64 v[2:3], v[2:3], v[22:23], s[14:15]
	s_mov_b32 s14, 0xcf8c9ee1
	v_add_f64 v[2:3], v[2:3], -2.0
	v_mov_b32_e32 v6, 0x93812603
	v_mov_b32_e32 v7, 0xbc72fecc
	s_mov_b32 s15, 0x3c5871a5
	v_fmac_f64_e32 v[6:7], s[14:15], v[2:3]
	v_mov_b32_e32 v9, 0xbc5871a5
	s_mov_b32 s14, 0x41a8cdf4
	v_fmac_f64_e32 v[8:9], v[2:3], v[6:7]
	s_mov_b32 s15, 0x3c8e092e
	v_add_f64 v[8:9], v[8:9], s[14:15]
	s_mov_b32 s14, 0x74d77641
	v_fma_f64 v[6:7], v[2:3], v[8:9], -v[6:7]
	s_mov_b32 s15, 0xbca82f94
	v_add_f64 v[6:7], v[6:7], s[14:15]
	s_mov_b32 s14, 0x6b94785b
	v_fma_f64 v[8:9], v[2:3], v[6:7], -v[8:9]
	;; [unrolled: 4-line block ×21, first 2 shown]
	s_mov_b32 s15, 0xbfa019f7
	v_add_f64 v[6:7], v[6:7], s[14:15]
	v_cmp_gt_f64_e32 vcc, s[18:19], v[22:23]
	v_fma_f64 v[2:3], v[2:3], v[6:7], -v[8:9]
	v_cndmask_b32_e64 v6, 0, 1, vcc
	v_lshlrev_b32_e32 v6, 8, v6
	v_ldexp_f64 v[6:7], v[22:23], v6
	v_rsq_f64_e32 v[10:11], v[6:7]
	s_mov_b32 s14, 0x9f4e6907
	s_mov_b32 s15, 0x400385bd
	v_add_f64 v[2:3], v[2:3], s[14:15]
	v_add_f64 v[2:3], v[2:3], -v[8:9]
	v_mul_f64 v[8:9], v[6:7], v[10:11]
	v_mul_f64 v[10:11], v[10:11], 0.5
	v_fma_f64 v[12:13], -v[10:11], v[8:9], 0.5
	v_fmac_f64_e32 v[8:9], v[8:9], v[12:13]
	v_fma_f64 v[22:23], -v[8:9], v[8:9], v[6:7]
	v_fmac_f64_e32 v[10:11], v[10:11], v[12:13]
	v_fmac_f64_e32 v[8:9], v[22:23], v[10:11]
	v_fma_f64 v[12:13], -v[8:9], v[8:9], v[6:7]
	v_fmac_f64_e32 v[8:9], v[12:13], v[10:11]
	v_mov_b32_e32 v10, 0xffffff80
	v_cndmask_b32_e32 v10, 0, v10, vcc
	v_ldexp_f64 v[8:9], v[8:9], v10
	v_mov_b32_e32 v10, 0x260
	v_cmp_class_f64_e32 vcc, v[6:7], v10
	v_mul_f64 v[2:3], v[2:3], 0.5
	v_cndmask_b32_e32 v7, v9, v7, vcc
	v_cndmask_b32_e32 v6, v8, v6, vcc
	v_div_scale_f64 v[8:9], s[14:15], v[6:7], v[6:7], v[2:3]
	v_rcp_f64_e32 v[10:11], v[8:9]
	v_fma_f64 v[12:13], -v[8:9], v[10:11], 1.0
	v_fmac_f64_e32 v[10:11], v[10:11], v[12:13]
	v_fma_f64 v[12:13], -v[8:9], v[10:11], 1.0
	v_fmac_f64_e32 v[10:11], v[10:11], v[12:13]
	v_div_scale_f64 v[12:13], vcc, v[2:3], v[6:7], v[2:3]
	v_mul_f64 v[22:23], v[12:13], v[10:11]
	v_fma_f64 v[8:9], -v[8:9], v[22:23], v[12:13]
	s_nop 1
	v_div_fmas_f64 v[8:9], v[8:9], v[10:11], v[22:23]
	v_div_fixup_f64 v[6:7], v[8:9], v[6:7], v[2:3]
.LBB0_19:
	s_or_b64 exec, exec, s[12:13]
.LBB0_20:
	s_or_b64 exec, exec, s[10:11]
.LBB0_21:
	s_or_b64 exec, exec, s[8:9]
.LBB0_22:
	s_or_b64 exec, exec, s[6:7]
	v_add_u32_e32 v24, 0x100, v5
	v_cmp_lt_i32_e32 vcc, v24, v4
	s_and_saveexec_b64 s[6:7], vcc
	s_cbranch_execz .LBB0_36
; %bb.23:
	v_mov_b32_e32 v8, 0
	s_waitcnt vmcnt(0) lgkmcnt(0)
	v_cmp_neq_f64_e32 vcc, 0, v[20:21]
	v_mov_b32_e32 v9, 0x7ff00000
	s_and_saveexec_b64 s[8:9], vcc
	s_cbranch_execz .LBB0_35
; %bb.24:
	v_mov_b32_e32 v8, 0
	v_cmp_ngt_f64_e32 vcc, 0, v[20:21]
	v_mov_b32_e32 v9, 0x7ff80000
	s_and_saveexec_b64 s[10:11], vcc
	s_cbranch_execz .LBB0_34
; %bb.25:
	v_cmp_ge_f64_e32 vcc, 2.0, v[20:21]
	s_and_saveexec_b64 s[12:13], vcc
	s_xor_b64 s[12:13], exec, s[12:13]
	s_cbranch_execz .LBB0_31
; %bb.26:
	s_mov_b32 s14, 0
	s_mov_b32 s15, 0x40200000
	v_mul_f64 v[2:3], v[20:21], 0.5
	v_cmp_ge_f64_e32 vcc, s[14:15], v[20:21]
                                        ; implicit-def: $vgpr22_vgpr23
                                        ; implicit-def: $vgpr8_vgpr9
	s_and_saveexec_b64 s[14:15], vcc
	s_xor_b64 s[14:15], exec, s[14:15]
	s_cbranch_execz .LBB0_28
; %bb.27:
	s_mov_b32 s18, 0x2134d0ef
	v_add_f64 v[8:9], v[2:3], -2.0
	v_mov_b32_e32 v22, 0x977da589
	v_mov_b32_e32 v23, 0x3c833362
	s_mov_b32 s19, 0xbc545cb7
	v_fmac_f64_e32 v[22:23], s[18:19], v[8:9]
	v_mov_b32_e32 v26, 0x2134d0ef
	v_mov_b32_e32 v27, 0x3c545cb7
	s_mov_b32 s18, 0x721ebbb4
	v_fmac_f64_e32 v[26:27], v[8:9], v[22:23]
	s_mov_b32 s19, 0xbcb184eb
	v_add_f64 v[26:27], v[26:27], s[18:19]
	s_mov_b32 s18, 0x93f65eba
	v_fma_f64 v[22:23], v[8:9], v[26:27], -v[22:23]
	s_mov_b32 s19, 0x3cdee6d8
	v_add_f64 v[22:23], v[22:23], s[18:19]
	s_mov_b32 s18, 0xc297fbeb
	v_fma_f64 v[26:27], v[8:9], v[22:23], -v[26:27]
	;; [unrolled: 4-line block ×27, first 2 shown]
	s_mov_b32 s19, 0x3fe5a84e
	v_add_f64 v[26:27], v[8:9], s[18:19]
	s_mov_b32 s18, 0x652b82fe
	s_mov_b32 s19, 0x3ff71547
	v_mul_f64 v[8:9], v[20:21], s[18:19]
	s_mov_b32 s18, 0xfefa39ef
	v_rndne_f64_e32 v[8:9], v[8:9]
	s_mov_b32 s19, 0xbfe62e42
	v_fma_f64 v[28:29], s[18:19], v[8:9], v[20:21]
	s_mov_b32 s18, 0x3b39803f
	s_mov_b32 s19, 0xbc7abc9e
	v_fmac_f64_e32 v[28:29], s[18:19], v[8:9]
	s_mov_b32 s18, 0x6a5dcb37
	v_mov_b32_e32 v30, 0xfca7ab0c
	v_mov_b32_e32 v31, 0x3e928af3
	s_mov_b32 s19, 0x3e5ade15
	v_fmac_f64_e32 v[30:31], s[18:19], v[28:29]
	v_mov_b32_e32 v32, 0x623fde64
	v_mov_b32_e32 v33, 0x3ec71dee
	v_fmac_f64_e32 v[32:33], v[28:29], v[30:31]
	v_mov_b32_e32 v30, 0x7c89e6b0
	v_mov_b32_e32 v31, 0x3efa0199
	;; [unrolled: 3-line block ×8, first 2 shown]
	v_fmac_f64_e32 v[30:31], v[28:29], v[32:33]
	v_fma_f64 v[30:31], v[28:29], v[30:31], 1.0
	s_mov_b32 s18, 0
	v_fma_f64 v[28:29], v[28:29], v[30:31], 1.0
	v_cvt_i32_f64_e32 v8, v[8:9]
	s_mov_b32 s19, 0x40900000
	v_ldexp_f64 v[8:9], v[28:29], v8
	v_mov_b32_e32 v15, 0x7ff00000
	v_cmp_nlt_f64_e32 vcc, s[18:19], v[20:21]
	v_add_f64 v[22:23], v[26:27], -v[22:23]
	v_cndmask_b32_e32 v9, v15, v9, vcc
	v_cndmask_b32_e32 v8, 0, v8, vcc
	v_mul_f64 v[22:23], v[22:23], 0.5
	v_mul_f64 v[22:23], v[8:9], v[22:23]
.LBB0_28:
	s_andn2_saveexec_b64 s[14:15], s[14:15]
	s_cbranch_execz .LBB0_30
; %bb.29:
	s_mov_b32 s18, 0
	s_mov_b32 s19, 0x40400000
	v_div_scale_f64 v[8:9], s[20:21], v[20:21], v[20:21], s[18:19]
	v_rcp_f64_e32 v[22:23], v[8:9]
	v_mov_b32_e32 v30, 0xfca7ab0c
	v_mov_b32_e32 v31, 0x3e928af3
	;; [unrolled: 1-line block ×3, first 2 shown]
	v_fma_f64 v[26:27], -v[8:9], v[22:23], 1.0
	v_fmac_f64_e32 v[22:23], v[22:23], v[26:27]
	v_fma_f64 v[26:27], -v[8:9], v[22:23], 1.0
	v_fmac_f64_e32 v[22:23], v[22:23], v[26:27]
	v_div_scale_f64 v[26:27], vcc, s[18:19], v[20:21], s[18:19]
	v_mul_f64 v[28:29], v[26:27], v[22:23]
	v_fma_f64 v[8:9], -v[8:9], v[28:29], v[26:27]
	v_mov_b32_e32 v26, 0x54ca8b19
	s_nop 0
	v_div_fmas_f64 v[8:9], v[8:9], v[22:23], v[28:29]
	v_div_fixup_f64 v[8:9], v[8:9], v[20:21], s[18:19]
	s_mov_b32 s18, 0x54ca8b19
	v_add_f64 v[8:9], v[8:9], -2.0
	v_mov_b32_e32 v22, 0x66119130
	v_mov_b32_e32 v23, 0xbc5646da
	s_mov_b32 s19, 0xbc60adb7
	v_fmac_f64_e32 v[22:23], s[18:19], v[8:9]
	v_mov_b32_e32 v27, 0x3c60adb7
	s_mov_b32 s18, 0x12d98421
	v_fmac_f64_e32 v[26:27], v[8:9], v[22:23]
	s_mov_b32 s19, 0x3c89be18
	v_add_f64 v[26:27], v[26:27], s[18:19]
	s_mov_b32 s18, 0x76041cd
	v_fma_f64 v[22:23], v[8:9], v[26:27], -v[22:23]
	s_mov_b32 s19, 0x3c83f3dd
	v_add_f64 v[22:23], v[22:23], s[18:19]
	s_mov_b32 s18, 0xabd21fe4
	v_fma_f64 v[26:27], v[8:9], v[22:23], -v[26:27]
	s_mov_b32 s19, 0xbcb4600b
	v_add_f64 v[26:27], v[26:27], s[18:19]
	s_mov_b32 s18, 0xd908de38
	v_fma_f64 v[22:23], v[8:9], v[26:27], -v[22:23]
	s_mov_b32 s19, 0xbcb8aee7
	v_add_f64 v[22:23], v[22:23], s[18:19]
	s_mov_b32 s18, 0xa3eafb1f
	v_fma_f64 v[26:27], v[8:9], v[22:23], -v[26:27]
	s_mov_b32 s19, 0x3cdfee7d
	v_add_f64 v[26:27], v[26:27], s[18:19]
	s_mov_b32 s18, 0x9094e6d7
	v_fma_f64 v[22:23], v[8:9], v[26:27], -v[22:23]
	s_mov_b32 s19, 0x3cf12a91
	v_add_f64 v[22:23], v[22:23], s[18:19]
	s_mov_b32 s18, 0x7e65629a
	v_fma_f64 v[26:27], v[8:9], v[22:23], -v[26:27]
	s_mov_b32 s19, 0xbd0583fe
	v_add_f64 v[26:27], v[26:27], s[18:19]
	s_mov_b32 s18, 0xcf68bb32
	v_fma_f64 v[22:23], v[8:9], v[26:27], -v[22:23]
	s_mov_b32 s19, 0xbd275d99
	v_add_f64 v[22:23], v[22:23], s[18:19]
	s_mov_b32 s18, 0xd5fc545
	v_fma_f64 v[26:27], v[8:9], v[22:23], -v[26:27]
	s_mov_b32 s19, 0x3d1156ff
	v_add_f64 v[26:27], v[26:27], s[18:19]
	s_mov_b32 s18, 0x6b83c073
	v_fma_f64 v[22:23], v[8:9], v[26:27], -v[22:23]
	s_mov_b32 s19, 0x3d5b1c8c
	v_add_f64 v[22:23], v[22:23], s[18:19]
	s_mov_b32 s18, 0xfa268cec
	v_fma_f64 v[26:27], v[8:9], v[22:23], -v[26:27]
	s_mov_b32 s19, 0x3d694347
	v_add_f64 v[26:27], v[26:27], s[18:19]
	s_mov_b32 s18, 0x3178d66
	v_fma_f64 v[22:23], v[8:9], v[26:27], -v[22:23]
	s_mov_b32 s19, 0xbd7f9043
	v_add_f64 v[22:23], v[22:23], s[18:19]
	s_mov_b32 s18, 0x357e7bf2
	v_fma_f64 v[26:27], v[8:9], v[22:23], -v[26:27]
	s_mov_b32 s19, 0xbdad0fd7
	v_add_f64 v[26:27], v[26:27], s[18:19]
	s_mov_b32 s18, 0x8397425
	v_fma_f64 v[22:23], v[8:9], v[26:27], -v[22:23]
	s_mov_b32 s19, 0xbdc1511d
	v_add_f64 v[22:23], v[22:23], s[18:19]
	s_mov_b32 s18, 0xabe8004f
	v_fma_f64 v[26:27], v[8:9], v[22:23], -v[26:27]
	s_mov_b32 s19, 0x3daa24fe
	v_add_f64 v[26:27], v[26:27], s[18:19]
	s_mov_b32 s18, 0xc0f46f75
	v_fma_f64 v[22:23], v[8:9], v[26:27], -v[22:23]
	s_mov_b32 s19, 0x3e00f9cc
	v_add_f64 v[22:23], v[22:23], s[18:19]
	s_mov_b32 s18, 0xa9225b87
	v_fma_f64 v[26:27], v[8:9], v[22:23], -v[26:27]
	s_mov_b32 s19, 0x3e2d2c64
	v_add_f64 v[26:27], v[26:27], s[18:19]
	s_mov_b32 s18, 0x80d6d56d
	v_fma_f64 v[22:23], v[8:9], v[26:27], -v[22:23]
	s_mov_b32 s19, 0x3e585692
	v_add_f64 v[22:23], v[22:23], s[18:19]
	s_mov_b32 s18, 0xd9cd616e
	v_fma_f64 v[26:27], v[8:9], v[22:23], -v[26:27]
	s_mov_b32 s19, 0x3e8b8007
	v_add_f64 v[26:27], v[26:27], s[18:19]
	s_mov_b32 s18, 0xc101c586
	v_fma_f64 v[22:23], v[8:9], v[26:27], -v[22:23]
	s_mov_b32 s19, 0x3ec8412b
	v_add_f64 v[22:23], v[22:23], s[18:19]
	s_mov_b32 s18, 0x78999e52
	v_fma_f64 v[26:27], v[8:9], v[22:23], -v[26:27]
	s_mov_b32 s19, 0x3f120fa3
	v_add_f64 v[26:27], v[26:27], s[18:19]
	s_mov_b32 s18, 0xa2e59049
	v_fma_f64 v[22:23], v[8:9], v[26:27], -v[22:23]
	s_mov_b32 s19, 0x3f6b998c
	v_add_f64 v[22:23], v[22:23], s[18:19]
	s_mov_b32 s18, 0xaca809cb
	v_fma_f64 v[8:9], v[8:9], v[22:23], -v[26:27]
	s_mov_b32 s19, 0x3fe9be62
	v_add_f64 v[22:23], v[8:9], s[18:19]
	s_mov_b32 s18, 0x652b82fe
	s_mov_b32 s19, 0x3ff71547
	v_mul_f64 v[8:9], v[20:21], s[18:19]
	s_mov_b32 s18, 0xfefa39ef
	v_rndne_f64_e32 v[8:9], v[8:9]
	s_mov_b32 s19, 0xbfe62e42
	v_fma_f64 v[28:29], s[18:19], v[8:9], v[20:21]
	s_mov_b32 s18, 0x3b39803f
	s_mov_b32 s19, 0xbc7abc9e
	v_fmac_f64_e32 v[28:29], s[18:19], v[8:9]
	s_mov_b32 s18, 0x6a5dcb37
	s_mov_b32 s19, 0x3e5ade15
	v_fmac_f64_e32 v[30:31], s[18:19], v[28:29]
	v_mov_b32_e32 v33, 0x3ec71dee
	v_fmac_f64_e32 v[32:33], v[28:29], v[30:31]
	v_mov_b32_e32 v30, 0x7c89e6b0
	v_mov_b32_e32 v31, 0x3efa0199
	v_fmac_f64_e32 v[30:31], v[28:29], v[32:33]
	v_mov_b32_e32 v32, 0x14761f6e
	;; [unrolled: 3-line block ×7, first 2 shown]
	v_mov_b32_e32 v31, 0x3fe00000
	v_fmac_f64_e32 v[30:31], v[28:29], v[32:33]
	s_mov_b32 s18, 0
	v_fma_f64 v[30:31], v[28:29], v[30:31], 1.0
	s_mov_b32 s19, 0x40900000
	v_fma_f64 v[28:29], v[28:29], v[30:31], 1.0
	v_cvt_i32_f64_e32 v8, v[8:9]
	v_cmp_nlt_f64_e32 vcc, s[18:19], v[20:21]
	s_mov_b32 s18, 0
	v_ldexp_f64 v[8:9], v[28:29], v8
	v_mov_b32_e32 v15, 0x7ff00000
	s_brev_b32 s19, 8
	v_cndmask_b32_e32 v9, v15, v9, vcc
	v_cndmask_b32_e32 v8, 0, v8, vcc
	v_cmp_gt_f64_e32 vcc, s[18:19], v[20:21]
	v_cndmask_b32_e64 v15, 0, 1, vcc
	v_lshlrev_b32_e32 v15, 8, v15
	v_ldexp_f64 v[28:29], v[20:21], v15
	v_rsq_f64_e32 v[30:31], v[28:29]
	v_add_f64 v[22:23], v[22:23], -v[26:27]
	v_mov_b32_e32 v15, 0xffffff80
	v_cndmask_b32_e32 v15, 0, v15, vcc
	v_mul_f64 v[26:27], v[28:29], v[30:31]
	v_mul_f64 v[30:31], v[30:31], 0.5
	v_fma_f64 v[32:33], -v[30:31], v[26:27], 0.5
	v_fmac_f64_e32 v[26:27], v[26:27], v[32:33]
	v_fma_f64 v[34:35], -v[26:27], v[26:27], v[28:29]
	v_fmac_f64_e32 v[30:31], v[30:31], v[32:33]
	v_fmac_f64_e32 v[26:27], v[34:35], v[30:31]
	v_fma_f64 v[32:33], -v[26:27], v[26:27], v[28:29]
	v_fmac_f64_e32 v[26:27], v[32:33], v[30:31]
	v_ldexp_f64 v[26:27], v[26:27], v15
	v_mov_b32_e32 v15, 0x260
	v_mul_f64 v[22:23], v[22:23], 0.5
	v_cmp_class_f64_e32 vcc, v[28:29], v15
	v_mul_f64 v[22:23], v[8:9], v[22:23]
	v_cndmask_b32_e32 v27, v27, v29, vcc
	v_cndmask_b32_e32 v26, v26, v28, vcc
	v_div_scale_f64 v[28:29], s[18:19], v[26:27], v[26:27], v[22:23]
	v_rcp_f64_e32 v[30:31], v[28:29]
	v_fma_f64 v[32:33], -v[28:29], v[30:31], 1.0
	v_fmac_f64_e32 v[30:31], v[30:31], v[32:33]
	v_fma_f64 v[32:33], -v[28:29], v[30:31], 1.0
	v_fmac_f64_e32 v[30:31], v[30:31], v[32:33]
	v_div_scale_f64 v[32:33], vcc, v[22:23], v[26:27], v[22:23]
	v_mul_f64 v[34:35], v[32:33], v[30:31]
	v_fma_f64 v[28:29], -v[28:29], v[34:35], v[32:33]
	s_nop 1
	v_div_fmas_f64 v[28:29], v[28:29], v[30:31], v[34:35]
	v_div_fixup_f64 v[22:23], v[28:29], v[26:27], v[22:23]
.LBB0_30:
	s_or_b64 exec, exec, s[14:15]
	s_mov_b32 s14, 0xe6a7fd77
	v_fma_f64 v[20:21], v[20:21], v[20:21], -2.0
	v_mov_b32_e32 v26, 0xc384c2aa
	v_mov_b32_e32 v27, 0x3d27fb0a
	s_mov_b32 s15, 0x3ca3cee1
	v_fmac_f64_e32 v[26:27], s[14:15], v[20:21]
	v_mov_b32_e32 v28, 0xe6a7fd77
	v_mov_b32_e32 v29, 0xbca3cee1
	s_mov_b32 s14, 0x47512144
	v_fmac_f64_e32 v[28:29], v[20:21], v[26:27]
	s_mov_b32 s15, 0x3da6c25c
	v_add_f64 v[28:29], v[28:29], s[14:15]
	s_mov_b32 s14, 0x67e58a13
	v_fma_f64 v[26:27], v[20:21], v[28:29], -v[26:27]
	s_mov_b32 s15, 0x3e205c13
	v_add_f64 v[26:27], v[26:27], s[14:15]
	s_mov_b32 s14, 0xe7f95efc
	v_fma_f64 v[28:29], v[20:21], v[26:27], -v[28:29]
	;; [unrolled: 4-line block ×7, first 2 shown]
	s_mov_b32 s15, 0xbfe12166
	v_add_f64 v[20:21], v[20:21], s[14:15]
	s_mov_b32 s14, 0x55555555
	v_add_f64 v[20:21], v[20:21], -v[26:27]
	v_frexp_mant_f64_e32 v[26:27], v[2:3]
	s_mov_b32 s15, 0x3fe55555
	v_mov_b32_e32 v25, 0x3ff00000
	v_cmp_gt_f64_e32 vcc, s[14:15], v[26:27]
	v_cndmask_b32_e64 v29, v25, 2.0, vcc
	v_mov_b32_e32 v28, 0
	v_mul_f64 v[26:27], v[26:27], v[28:29]
	v_add_f64 v[28:29], v[26:27], 1.0
	v_rcp_f64_e32 v[30:31], v[28:29]
	v_add_f64 v[34:35], v[28:29], -1.0
	v_add_f64 v[32:33], v[26:27], -1.0
	v_add_f64 v[26:27], v[26:27], -v[34:35]
	v_fma_f64 v[34:35], -v[28:29], v[30:31], 1.0
	v_fmac_f64_e32 v[30:31], v[34:35], v[30:31]
	v_fma_f64 v[34:35], -v[28:29], v[30:31], 1.0
	v_fmac_f64_e32 v[30:31], v[34:35], v[30:31]
	v_mul_f64 v[34:35], v[32:33], v[30:31]
	v_mul_f64 v[36:37], v[28:29], v[34:35]
	v_fma_f64 v[28:29], v[34:35], v[28:29], -v[36:37]
	v_fmac_f64_e32 v[28:29], v[34:35], v[26:27]
	v_add_f64 v[26:27], v[36:37], v[28:29]
	v_add_f64 v[38:39], v[32:33], -v[26:27]
	v_add_f64 v[36:37], v[26:27], -v[36:37]
	;; [unrolled: 1-line block ×5, first 2 shown]
	v_add_f64 v[26:27], v[28:29], v[26:27]
	v_add_f64 v[26:27], v[38:39], v[26:27]
	v_mul_f64 v[26:27], v[30:31], v[26:27]
	v_add_f64 v[28:29], v[34:35], v[26:27]
	v_add_f64 v[30:31], v[28:29], -v[34:35]
	s_mov_b32 s14, 0xbf559e2b
	v_add_f64 v[26:27], v[26:27], -v[30:31]
	v_mul_f64 v[30:31], v[28:29], v[28:29]
	v_mov_b32_e32 v32, 0x6b47b09a
	v_mov_b32_e32 v33, 0x3fc38538
	s_mov_b32 s15, 0x3fc3ab76
	v_fmac_f64_e32 v[32:33], s[14:15], v[30:31]
	v_mov_b32_e32 v34, 0xd7f4df2e
	v_mov_b32_e32 v35, 0x3fc7474d
	v_fmac_f64_e32 v[34:35], v[30:31], v[32:33]
	v_mov_b32_e32 v32, 0x16291751
	v_mov_b32_e32 v33, 0x3fcc71c0
	;; [unrolled: 3-line block ×5, first 2 shown]
	v_fmac_f64_e32 v[34:35], v[30:31], v[32:33]
	v_ldexp_f64 v[32:33], v[28:29], 1
	v_mul_f64 v[28:29], v[28:29], v[30:31]
	v_mul_f64 v[28:29], v[28:29], v[34:35]
	v_add_f64 v[30:31], v[32:33], v[28:29]
	v_add_f64 v[32:33], v[30:31], -v[32:33]
	v_ldexp_f64 v[26:27], v[26:27], 1
	v_add_f64 v[28:29], v[28:29], -v[32:33]
	v_add_f64 v[26:27], v[26:27], v[28:29]
	v_frexp_exp_i32_f64_e32 v15, v[2:3]
	v_add_f64 v[28:29], v[30:31], v[26:27]
	v_subbrev_co_u32_e32 v15, vcc, 0, v15, vcc
	v_add_f64 v[30:31], v[28:29], -v[30:31]
	s_mov_b32 s14, 0xfefa39ef
	v_add_f64 v[26:27], v[26:27], -v[30:31]
	v_cvt_f64_i32_e32 v[30:31], v15
	s_mov_b32 s15, 0x3fe62e42
	v_mul_f64 v[32:33], v[30:31], s[14:15]
	v_fma_f64 v[34:35], v[30:31], s[14:15], -v[32:33]
	s_mov_b32 s14, 0x3b39803f
	s_mov_b32 s15, 0x3c7abc9e
	v_fmac_f64_e32 v[34:35], s[14:15], v[30:31]
	v_add_f64 v[30:31], v[32:33], v[34:35]
	v_add_f64 v[32:33], v[30:31], -v[32:33]
	v_add_f64 v[32:33], v[34:35], -v[32:33]
	v_add_f64 v[34:35], v[30:31], v[28:29]
	v_add_f64 v[36:37], v[34:35], -v[30:31]
	v_add_f64 v[38:39], v[34:35], -v[36:37]
	;; [unrolled: 1-line block ×4, first 2 shown]
	v_add_f64 v[28:29], v[28:29], v[30:31]
	v_add_f64 v[30:31], v[32:33], v[26:27]
	v_add_f64 v[36:37], v[30:31], -v[32:33]
	v_add_f64 v[38:39], v[30:31], -v[36:37]
	v_add_f64 v[28:29], v[30:31], v[28:29]
	v_add_f64 v[32:33], v[32:33], -v[38:39]
	v_add_f64 v[26:27], v[26:27], -v[36:37]
	v_add_f64 v[30:31], v[34:35], v[28:29]
	v_add_f64 v[26:27], v[26:27], v[32:33]
	v_add_f64 v[32:33], v[30:31], -v[34:35]
	v_add_f64 v[28:29], v[28:29], -v[32:33]
	s_mov_b32 s14, 0
	v_add_f64 v[26:27], v[26:27], v[28:29]
	s_mov_b32 s15, 0x7ff00000
	v_add_f64 v[26:27], v[30:31], v[26:27]
	v_cmp_eq_f64_e32 vcc, s[14:15], v[2:3]
	v_cndmask_b32_e32 v15, v26, v2, vcc
	v_cndmask_b32_e32 v25, v27, v3, vcc
	v_mov_b32_e32 v26, 0xfff00000
	v_cmp_neq_f64_e32 vcc, 0, v[2:3]
	v_cndmask_b32_e32 v3, v26, v25, vcc
	v_cndmask_b32_e32 v2, 0, v15, vcc
	v_mul_f64 v[2:3], v[2:3], v[22:23]
	v_fma_f64 v[2:3], v[20:21], 0.5, -v[2:3]
	v_mul_f64 v[8:9], v[8:9], v[2:3]
                                        ; implicit-def: $vgpr20_vgpr21
.LBB0_31:
	s_andn2_saveexec_b64 s[12:13], s[12:13]
	s_cbranch_execz .LBB0_33
; %bb.32:
	s_mov_b32 s14, 0
	s_mov_b32 s15, 0x40200000
	v_div_scale_f64 v[2:3], s[18:19], v[20:21], v[20:21], s[14:15]
	v_rcp_f64_e32 v[8:9], v[2:3]
	s_mov_b32 s18, 0
	s_brev_b32 s19, 8
	v_mov_b32_e32 v15, 0xffffff80
	v_fma_f64 v[22:23], -v[2:3], v[8:9], 1.0
	v_fmac_f64_e32 v[8:9], v[8:9], v[22:23]
	v_fma_f64 v[22:23], -v[2:3], v[8:9], 1.0
	v_fmac_f64_e32 v[8:9], v[8:9], v[22:23]
	v_div_scale_f64 v[22:23], vcc, s[14:15], v[20:21], s[14:15]
	v_mul_f64 v[26:27], v[22:23], v[8:9]
	v_fma_f64 v[2:3], -v[2:3], v[26:27], v[22:23]
	v_mov_b32_e32 v22, 0xcf8c9ee1
	s_nop 0
	v_div_fmas_f64 v[2:3], v[2:3], v[8:9], v[26:27]
	v_div_fixup_f64 v[2:3], v[2:3], v[20:21], s[14:15]
	s_mov_b32 s14, 0xcf8c9ee1
	v_add_f64 v[2:3], v[2:3], -2.0
	v_mov_b32_e32 v8, 0x93812603
	v_mov_b32_e32 v9, 0xbc72fecc
	s_mov_b32 s15, 0x3c5871a5
	v_fmac_f64_e32 v[8:9], s[14:15], v[2:3]
	v_mov_b32_e32 v23, 0xbc5871a5
	s_mov_b32 s14, 0x41a8cdf4
	v_fmac_f64_e32 v[22:23], v[2:3], v[8:9]
	s_mov_b32 s15, 0x3c8e092e
	v_add_f64 v[22:23], v[22:23], s[14:15]
	s_mov_b32 s14, 0x74d77641
	v_fma_f64 v[8:9], v[2:3], v[22:23], -v[8:9]
	s_mov_b32 s15, 0xbca82f94
	v_add_f64 v[8:9], v[8:9], s[14:15]
	s_mov_b32 s14, 0x6b94785b
	v_fma_f64 v[22:23], v[2:3], v[8:9], -v[22:23]
	;; [unrolled: 4-line block ×21, first 2 shown]
	s_mov_b32 s15, 0xbfa019f7
	v_add_f64 v[8:9], v[8:9], s[14:15]
	v_cmp_gt_f64_e32 vcc, s[18:19], v[20:21]
	v_fma_f64 v[2:3], v[2:3], v[8:9], -v[22:23]
	v_cndmask_b32_e64 v8, 0, 1, vcc
	v_lshlrev_b32_e32 v8, 8, v8
	v_ldexp_f64 v[8:9], v[20:21], v8
	v_rsq_f64_e32 v[20:21], v[8:9]
	s_mov_b32 s14, 0x9f4e6907
	s_mov_b32 s15, 0x400385bd
	v_add_f64 v[2:3], v[2:3], s[14:15]
	v_add_f64 v[2:3], v[2:3], -v[22:23]
	v_mul_f64 v[22:23], v[8:9], v[20:21]
	v_mul_f64 v[20:21], v[20:21], 0.5
	v_fma_f64 v[26:27], -v[20:21], v[22:23], 0.5
	v_fmac_f64_e32 v[22:23], v[22:23], v[26:27]
	v_fma_f64 v[28:29], -v[22:23], v[22:23], v[8:9]
	v_fmac_f64_e32 v[20:21], v[20:21], v[26:27]
	v_fmac_f64_e32 v[22:23], v[28:29], v[20:21]
	v_fma_f64 v[26:27], -v[22:23], v[22:23], v[8:9]
	v_fmac_f64_e32 v[22:23], v[26:27], v[20:21]
	v_cndmask_b32_e32 v15, 0, v15, vcc
	v_ldexp_f64 v[20:21], v[22:23], v15
	v_mov_b32_e32 v15, 0x260
	v_cmp_class_f64_e32 vcc, v[8:9], v15
	v_mul_f64 v[2:3], v[2:3], 0.5
	v_cndmask_b32_e32 v9, v21, v9, vcc
	v_cndmask_b32_e32 v8, v20, v8, vcc
	v_div_scale_f64 v[20:21], s[14:15], v[8:9], v[8:9], v[2:3]
	v_rcp_f64_e32 v[22:23], v[20:21]
	v_fma_f64 v[26:27], -v[20:21], v[22:23], 1.0
	v_fmac_f64_e32 v[22:23], v[22:23], v[26:27]
	v_fma_f64 v[26:27], -v[20:21], v[22:23], 1.0
	v_fmac_f64_e32 v[22:23], v[22:23], v[26:27]
	v_div_scale_f64 v[26:27], vcc, v[2:3], v[8:9], v[2:3]
	v_mul_f64 v[28:29], v[26:27], v[22:23]
	v_fma_f64 v[20:21], -v[20:21], v[28:29], v[26:27]
	s_nop 1
	v_div_fmas_f64 v[20:21], v[20:21], v[22:23], v[28:29]
	v_div_fixup_f64 v[8:9], v[20:21], v[8:9], v[2:3]
.LBB0_33:
	s_or_b64 exec, exec, s[12:13]
.LBB0_34:
	s_or_b64 exec, exec, s[10:11]
.LBB0_35:
	s_or_b64 exec, exec, s[8:9]
.LBB0_36:
	s_or_b64 exec, exec, s[6:7]
	v_add_u32_e32 v2, 0x200, v5
	v_cmp_lt_i32_e32 vcc, v2, v4
	s_and_saveexec_b64 s[6:7], vcc
	s_cbranch_execz .LBB0_50
; %bb.37:
	v_mov_b32_e32 v10, 0
	s_waitcnt vmcnt(0) lgkmcnt(0)
	v_cmp_neq_f64_e32 vcc, 0, v[18:19]
	v_mov_b32_e32 v11, 0x7ff00000
	s_and_saveexec_b64 s[8:9], vcc
	s_cbranch_execz .LBB0_49
; %bb.38:
	v_mov_b32_e32 v10, 0
	v_cmp_ngt_f64_e32 vcc, 0, v[18:19]
	v_mov_b32_e32 v11, 0x7ff80000
	s_and_saveexec_b64 s[10:11], vcc
	s_cbranch_execz .LBB0_48
; %bb.39:
	v_cmp_ge_f64_e32 vcc, 2.0, v[18:19]
	s_and_saveexec_b64 s[12:13], vcc
	s_xor_b64 s[12:13], exec, s[12:13]
	s_cbranch_execz .LBB0_45
; %bb.40:
	s_mov_b32 s14, 0
	s_mov_b32 s15, 0x40200000
	v_mul_f64 v[2:3], v[18:19], 0.5
	v_cmp_ge_f64_e32 vcc, s[14:15], v[18:19]
                                        ; implicit-def: $vgpr20_vgpr21
                                        ; implicit-def: $vgpr10_vgpr11
	s_and_saveexec_b64 s[14:15], vcc
	s_xor_b64 s[14:15], exec, s[14:15]
	s_cbranch_execz .LBB0_42
; %bb.41:
	s_mov_b32 s18, 0x2134d0ef
	v_add_f64 v[10:11], v[2:3], -2.0
	v_mov_b32_e32 v20, 0x977da589
	v_mov_b32_e32 v21, 0x3c833362
	s_mov_b32 s19, 0xbc545cb7
	v_fmac_f64_e32 v[20:21], s[18:19], v[10:11]
	v_mov_b32_e32 v22, 0x2134d0ef
	v_mov_b32_e32 v23, 0x3c545cb7
	s_mov_b32 s18, 0x721ebbb4
	v_fmac_f64_e32 v[22:23], v[10:11], v[20:21]
	s_mov_b32 s19, 0xbcb184eb
	v_add_f64 v[22:23], v[22:23], s[18:19]
	s_mov_b32 s18, 0x93f65eba
	v_fma_f64 v[20:21], v[10:11], v[22:23], -v[20:21]
	s_mov_b32 s19, 0x3cdee6d8
	v_add_f64 v[20:21], v[20:21], s[18:19]
	s_mov_b32 s18, 0xc297fbeb
	v_fma_f64 v[22:23], v[10:11], v[20:21], -v[22:23]
	;; [unrolled: 4-line block ×27, first 2 shown]
	s_mov_b32 s19, 0x3fe5a84e
	v_add_f64 v[22:23], v[10:11], s[18:19]
	s_mov_b32 s18, 0x652b82fe
	s_mov_b32 s19, 0x3ff71547
	v_mul_f64 v[10:11], v[18:19], s[18:19]
	s_mov_b32 s18, 0xfefa39ef
	v_rndne_f64_e32 v[10:11], v[10:11]
	s_mov_b32 s19, 0xbfe62e42
	v_fma_f64 v[26:27], s[18:19], v[10:11], v[18:19]
	s_mov_b32 s18, 0x3b39803f
	s_mov_b32 s19, 0xbc7abc9e
	v_fmac_f64_e32 v[26:27], s[18:19], v[10:11]
	s_mov_b32 s18, 0x6a5dcb37
	v_mov_b32_e32 v28, 0xfca7ab0c
	v_mov_b32_e32 v29, 0x3e928af3
	s_mov_b32 s19, 0x3e5ade15
	v_fmac_f64_e32 v[28:29], s[18:19], v[26:27]
	v_mov_b32_e32 v30, 0x623fde64
	v_mov_b32_e32 v31, 0x3ec71dee
	v_fmac_f64_e32 v[30:31], v[26:27], v[28:29]
	v_mov_b32_e32 v28, 0x7c89e6b0
	v_mov_b32_e32 v29, 0x3efa0199
	;; [unrolled: 3-line block ×8, first 2 shown]
	v_fmac_f64_e32 v[28:29], v[26:27], v[30:31]
	v_fma_f64 v[28:29], v[26:27], v[28:29], 1.0
	s_mov_b32 s18, 0
	v_fma_f64 v[26:27], v[26:27], v[28:29], 1.0
	v_cvt_i32_f64_e32 v10, v[10:11]
	s_mov_b32 s19, 0x40900000
	v_ldexp_f64 v[10:11], v[26:27], v10
	v_mov_b32_e32 v15, 0x7ff00000
	v_cmp_nlt_f64_e32 vcc, s[18:19], v[18:19]
	v_add_f64 v[20:21], v[22:23], -v[20:21]
	v_cndmask_b32_e32 v11, v15, v11, vcc
	v_cndmask_b32_e32 v10, 0, v10, vcc
	v_mul_f64 v[20:21], v[20:21], 0.5
	v_mul_f64 v[20:21], v[10:11], v[20:21]
.LBB0_42:
	s_andn2_saveexec_b64 s[14:15], s[14:15]
	s_cbranch_execz .LBB0_44
; %bb.43:
	s_mov_b32 s18, 0
	s_mov_b32 s19, 0x40400000
	v_div_scale_f64 v[10:11], s[20:21], v[18:19], v[18:19], s[18:19]
	v_rcp_f64_e32 v[20:21], v[10:11]
	v_mov_b32_e32 v28, 0xfca7ab0c
	v_mov_b32_e32 v29, 0x3e928af3
	;; [unrolled: 1-line block ×3, first 2 shown]
	v_fma_f64 v[22:23], -v[10:11], v[20:21], 1.0
	v_fmac_f64_e32 v[20:21], v[20:21], v[22:23]
	v_fma_f64 v[22:23], -v[10:11], v[20:21], 1.0
	v_fmac_f64_e32 v[20:21], v[20:21], v[22:23]
	v_div_scale_f64 v[22:23], vcc, s[18:19], v[18:19], s[18:19]
	v_mul_f64 v[26:27], v[22:23], v[20:21]
	v_fma_f64 v[10:11], -v[10:11], v[26:27], v[22:23]
	v_mov_b32_e32 v22, 0x54ca8b19
	s_nop 0
	v_div_fmas_f64 v[10:11], v[10:11], v[20:21], v[26:27]
	v_div_fixup_f64 v[10:11], v[10:11], v[18:19], s[18:19]
	s_mov_b32 s18, 0x54ca8b19
	v_add_f64 v[10:11], v[10:11], -2.0
	v_mov_b32_e32 v20, 0x66119130
	v_mov_b32_e32 v21, 0xbc5646da
	s_mov_b32 s19, 0xbc60adb7
	v_fmac_f64_e32 v[20:21], s[18:19], v[10:11]
	v_mov_b32_e32 v23, 0x3c60adb7
	s_mov_b32 s18, 0x12d98421
	v_fmac_f64_e32 v[22:23], v[10:11], v[20:21]
	s_mov_b32 s19, 0x3c89be18
	v_add_f64 v[22:23], v[22:23], s[18:19]
	s_mov_b32 s18, 0x76041cd
	v_fma_f64 v[20:21], v[10:11], v[22:23], -v[20:21]
	s_mov_b32 s19, 0x3c83f3dd
	v_add_f64 v[20:21], v[20:21], s[18:19]
	s_mov_b32 s18, 0xabd21fe4
	v_fma_f64 v[22:23], v[10:11], v[20:21], -v[22:23]
	s_mov_b32 s19, 0xbcb4600b
	v_add_f64 v[22:23], v[22:23], s[18:19]
	s_mov_b32 s18, 0xd908de38
	v_fma_f64 v[20:21], v[10:11], v[22:23], -v[20:21]
	s_mov_b32 s19, 0xbcb8aee7
	v_add_f64 v[20:21], v[20:21], s[18:19]
	s_mov_b32 s18, 0xa3eafb1f
	v_fma_f64 v[22:23], v[10:11], v[20:21], -v[22:23]
	s_mov_b32 s19, 0x3cdfee7d
	v_add_f64 v[22:23], v[22:23], s[18:19]
	s_mov_b32 s18, 0x9094e6d7
	v_fma_f64 v[20:21], v[10:11], v[22:23], -v[20:21]
	s_mov_b32 s19, 0x3cf12a91
	v_add_f64 v[20:21], v[20:21], s[18:19]
	s_mov_b32 s18, 0x7e65629a
	v_fma_f64 v[22:23], v[10:11], v[20:21], -v[22:23]
	s_mov_b32 s19, 0xbd0583fe
	v_add_f64 v[22:23], v[22:23], s[18:19]
	s_mov_b32 s18, 0xcf68bb32
	v_fma_f64 v[20:21], v[10:11], v[22:23], -v[20:21]
	s_mov_b32 s19, 0xbd275d99
	v_add_f64 v[20:21], v[20:21], s[18:19]
	s_mov_b32 s18, 0xd5fc545
	v_fma_f64 v[22:23], v[10:11], v[20:21], -v[22:23]
	s_mov_b32 s19, 0x3d1156ff
	v_add_f64 v[22:23], v[22:23], s[18:19]
	s_mov_b32 s18, 0x6b83c073
	v_fma_f64 v[20:21], v[10:11], v[22:23], -v[20:21]
	s_mov_b32 s19, 0x3d5b1c8c
	v_add_f64 v[20:21], v[20:21], s[18:19]
	s_mov_b32 s18, 0xfa268cec
	v_fma_f64 v[22:23], v[10:11], v[20:21], -v[22:23]
	s_mov_b32 s19, 0x3d694347
	v_add_f64 v[22:23], v[22:23], s[18:19]
	s_mov_b32 s18, 0x3178d66
	v_fma_f64 v[20:21], v[10:11], v[22:23], -v[20:21]
	s_mov_b32 s19, 0xbd7f9043
	v_add_f64 v[20:21], v[20:21], s[18:19]
	s_mov_b32 s18, 0x357e7bf2
	v_fma_f64 v[22:23], v[10:11], v[20:21], -v[22:23]
	s_mov_b32 s19, 0xbdad0fd7
	v_add_f64 v[22:23], v[22:23], s[18:19]
	s_mov_b32 s18, 0x8397425
	v_fma_f64 v[20:21], v[10:11], v[22:23], -v[20:21]
	s_mov_b32 s19, 0xbdc1511d
	v_add_f64 v[20:21], v[20:21], s[18:19]
	s_mov_b32 s18, 0xabe8004f
	v_fma_f64 v[22:23], v[10:11], v[20:21], -v[22:23]
	s_mov_b32 s19, 0x3daa24fe
	v_add_f64 v[22:23], v[22:23], s[18:19]
	s_mov_b32 s18, 0xc0f46f75
	v_fma_f64 v[20:21], v[10:11], v[22:23], -v[20:21]
	s_mov_b32 s19, 0x3e00f9cc
	v_add_f64 v[20:21], v[20:21], s[18:19]
	s_mov_b32 s18, 0xa9225b87
	v_fma_f64 v[22:23], v[10:11], v[20:21], -v[22:23]
	s_mov_b32 s19, 0x3e2d2c64
	v_add_f64 v[22:23], v[22:23], s[18:19]
	s_mov_b32 s18, 0x80d6d56d
	v_fma_f64 v[20:21], v[10:11], v[22:23], -v[20:21]
	s_mov_b32 s19, 0x3e585692
	v_add_f64 v[20:21], v[20:21], s[18:19]
	s_mov_b32 s18, 0xd9cd616e
	v_fma_f64 v[22:23], v[10:11], v[20:21], -v[22:23]
	s_mov_b32 s19, 0x3e8b8007
	v_add_f64 v[22:23], v[22:23], s[18:19]
	s_mov_b32 s18, 0xc101c586
	v_fma_f64 v[20:21], v[10:11], v[22:23], -v[20:21]
	s_mov_b32 s19, 0x3ec8412b
	v_add_f64 v[20:21], v[20:21], s[18:19]
	s_mov_b32 s18, 0x78999e52
	v_fma_f64 v[22:23], v[10:11], v[20:21], -v[22:23]
	s_mov_b32 s19, 0x3f120fa3
	v_add_f64 v[22:23], v[22:23], s[18:19]
	s_mov_b32 s18, 0xa2e59049
	v_fma_f64 v[20:21], v[10:11], v[22:23], -v[20:21]
	s_mov_b32 s19, 0x3f6b998c
	v_add_f64 v[20:21], v[20:21], s[18:19]
	s_mov_b32 s18, 0xaca809cb
	v_fma_f64 v[10:11], v[10:11], v[20:21], -v[22:23]
	s_mov_b32 s19, 0x3fe9be62
	v_add_f64 v[20:21], v[10:11], s[18:19]
	s_mov_b32 s18, 0x652b82fe
	s_mov_b32 s19, 0x3ff71547
	v_mul_f64 v[10:11], v[18:19], s[18:19]
	s_mov_b32 s18, 0xfefa39ef
	v_rndne_f64_e32 v[10:11], v[10:11]
	s_mov_b32 s19, 0xbfe62e42
	v_fma_f64 v[26:27], s[18:19], v[10:11], v[18:19]
	s_mov_b32 s18, 0x3b39803f
	s_mov_b32 s19, 0xbc7abc9e
	v_fmac_f64_e32 v[26:27], s[18:19], v[10:11]
	s_mov_b32 s18, 0x6a5dcb37
	s_mov_b32 s19, 0x3e5ade15
	v_fmac_f64_e32 v[28:29], s[18:19], v[26:27]
	v_mov_b32_e32 v31, 0x3ec71dee
	v_fmac_f64_e32 v[30:31], v[26:27], v[28:29]
	v_mov_b32_e32 v28, 0x7c89e6b0
	v_mov_b32_e32 v29, 0x3efa0199
	v_fmac_f64_e32 v[28:29], v[26:27], v[30:31]
	v_mov_b32_e32 v30, 0x14761f6e
	;; [unrolled: 3-line block ×7, first 2 shown]
	v_mov_b32_e32 v29, 0x3fe00000
	v_fmac_f64_e32 v[28:29], v[26:27], v[30:31]
	s_mov_b32 s18, 0
	v_fma_f64 v[28:29], v[26:27], v[28:29], 1.0
	s_mov_b32 s19, 0x40900000
	v_fma_f64 v[26:27], v[26:27], v[28:29], 1.0
	v_cvt_i32_f64_e32 v10, v[10:11]
	v_cmp_nlt_f64_e32 vcc, s[18:19], v[18:19]
	s_mov_b32 s18, 0
	v_ldexp_f64 v[10:11], v[26:27], v10
	v_mov_b32_e32 v15, 0x7ff00000
	s_brev_b32 s19, 8
	v_cndmask_b32_e32 v11, v15, v11, vcc
	v_cndmask_b32_e32 v10, 0, v10, vcc
	v_cmp_gt_f64_e32 vcc, s[18:19], v[18:19]
	v_cndmask_b32_e64 v15, 0, 1, vcc
	v_lshlrev_b32_e32 v15, 8, v15
	v_ldexp_f64 v[26:27], v[18:19], v15
	v_rsq_f64_e32 v[28:29], v[26:27]
	v_add_f64 v[20:21], v[20:21], -v[22:23]
	v_mov_b32_e32 v15, 0xffffff80
	v_cndmask_b32_e32 v15, 0, v15, vcc
	v_mul_f64 v[22:23], v[26:27], v[28:29]
	v_mul_f64 v[28:29], v[28:29], 0.5
	v_fma_f64 v[30:31], -v[28:29], v[22:23], 0.5
	v_fmac_f64_e32 v[22:23], v[22:23], v[30:31]
	v_fma_f64 v[32:33], -v[22:23], v[22:23], v[26:27]
	v_fmac_f64_e32 v[28:29], v[28:29], v[30:31]
	v_fmac_f64_e32 v[22:23], v[32:33], v[28:29]
	v_fma_f64 v[30:31], -v[22:23], v[22:23], v[26:27]
	v_fmac_f64_e32 v[22:23], v[30:31], v[28:29]
	v_ldexp_f64 v[22:23], v[22:23], v15
	v_mov_b32_e32 v15, 0x260
	v_mul_f64 v[20:21], v[20:21], 0.5
	v_cmp_class_f64_e32 vcc, v[26:27], v15
	v_mul_f64 v[20:21], v[10:11], v[20:21]
	v_cndmask_b32_e32 v23, v23, v27, vcc
	v_cndmask_b32_e32 v22, v22, v26, vcc
	v_div_scale_f64 v[26:27], s[18:19], v[22:23], v[22:23], v[20:21]
	v_rcp_f64_e32 v[28:29], v[26:27]
	v_fma_f64 v[30:31], -v[26:27], v[28:29], 1.0
	v_fmac_f64_e32 v[28:29], v[28:29], v[30:31]
	v_fma_f64 v[30:31], -v[26:27], v[28:29], 1.0
	v_fmac_f64_e32 v[28:29], v[28:29], v[30:31]
	v_div_scale_f64 v[30:31], vcc, v[20:21], v[22:23], v[20:21]
	v_mul_f64 v[32:33], v[30:31], v[28:29]
	v_fma_f64 v[26:27], -v[26:27], v[32:33], v[30:31]
	s_nop 1
	v_div_fmas_f64 v[26:27], v[26:27], v[28:29], v[32:33]
	v_div_fixup_f64 v[20:21], v[26:27], v[22:23], v[20:21]
.LBB0_44:
	s_or_b64 exec, exec, s[14:15]
	s_mov_b32 s14, 0xe6a7fd77
	v_fma_f64 v[18:19], v[18:19], v[18:19], -2.0
	v_mov_b32_e32 v22, 0xc384c2aa
	v_mov_b32_e32 v23, 0x3d27fb0a
	s_mov_b32 s15, 0x3ca3cee1
	v_fmac_f64_e32 v[22:23], s[14:15], v[18:19]
	v_mov_b32_e32 v26, 0xe6a7fd77
	v_mov_b32_e32 v27, 0xbca3cee1
	s_mov_b32 s14, 0x47512144
	v_fmac_f64_e32 v[26:27], v[18:19], v[22:23]
	s_mov_b32 s15, 0x3da6c25c
	v_add_f64 v[26:27], v[26:27], s[14:15]
	s_mov_b32 s14, 0x67e58a13
	v_fma_f64 v[22:23], v[18:19], v[26:27], -v[22:23]
	s_mov_b32 s15, 0x3e205c13
	v_add_f64 v[22:23], v[22:23], s[14:15]
	s_mov_b32 s14, 0xe7f95efc
	v_fma_f64 v[26:27], v[18:19], v[22:23], -v[26:27]
	;; [unrolled: 4-line block ×7, first 2 shown]
	s_mov_b32 s15, 0xbfe12166
	v_add_f64 v[18:19], v[18:19], s[14:15]
	s_mov_b32 s14, 0x55555555
	v_add_f64 v[18:19], v[18:19], -v[22:23]
	v_frexp_mant_f64_e32 v[22:23], v[2:3]
	s_mov_b32 s15, 0x3fe55555
	v_mov_b32_e32 v25, 0x3ff00000
	v_cmp_gt_f64_e32 vcc, s[14:15], v[22:23]
	v_cndmask_b32_e64 v27, v25, 2.0, vcc
	v_mov_b32_e32 v26, 0
	v_mul_f64 v[22:23], v[22:23], v[26:27]
	v_add_f64 v[26:27], v[22:23], 1.0
	v_rcp_f64_e32 v[28:29], v[26:27]
	v_add_f64 v[32:33], v[26:27], -1.0
	v_add_f64 v[30:31], v[22:23], -1.0
	v_add_f64 v[22:23], v[22:23], -v[32:33]
	v_fma_f64 v[32:33], -v[26:27], v[28:29], 1.0
	v_fmac_f64_e32 v[28:29], v[32:33], v[28:29]
	v_fma_f64 v[32:33], -v[26:27], v[28:29], 1.0
	v_fmac_f64_e32 v[28:29], v[32:33], v[28:29]
	v_mul_f64 v[32:33], v[30:31], v[28:29]
	v_mul_f64 v[34:35], v[26:27], v[32:33]
	v_fma_f64 v[26:27], v[32:33], v[26:27], -v[34:35]
	v_fmac_f64_e32 v[26:27], v[32:33], v[22:23]
	v_add_f64 v[22:23], v[34:35], v[26:27]
	v_add_f64 v[36:37], v[30:31], -v[22:23]
	v_add_f64 v[34:35], v[22:23], -v[34:35]
	;; [unrolled: 1-line block ×5, first 2 shown]
	v_add_f64 v[22:23], v[26:27], v[22:23]
	v_add_f64 v[22:23], v[36:37], v[22:23]
	v_mul_f64 v[22:23], v[28:29], v[22:23]
	v_add_f64 v[26:27], v[32:33], v[22:23]
	v_add_f64 v[28:29], v[26:27], -v[32:33]
	s_mov_b32 s14, 0xbf559e2b
	v_add_f64 v[22:23], v[22:23], -v[28:29]
	v_mul_f64 v[28:29], v[26:27], v[26:27]
	v_mov_b32_e32 v30, 0x6b47b09a
	v_mov_b32_e32 v31, 0x3fc38538
	s_mov_b32 s15, 0x3fc3ab76
	v_fmac_f64_e32 v[30:31], s[14:15], v[28:29]
	v_mov_b32_e32 v32, 0xd7f4df2e
	v_mov_b32_e32 v33, 0x3fc7474d
	v_fmac_f64_e32 v[32:33], v[28:29], v[30:31]
	v_mov_b32_e32 v30, 0x16291751
	v_mov_b32_e32 v31, 0x3fcc71c0
	;; [unrolled: 3-line block ×5, first 2 shown]
	v_fmac_f64_e32 v[32:33], v[28:29], v[30:31]
	v_ldexp_f64 v[30:31], v[26:27], 1
	v_mul_f64 v[26:27], v[26:27], v[28:29]
	v_mul_f64 v[26:27], v[26:27], v[32:33]
	v_add_f64 v[28:29], v[30:31], v[26:27]
	v_add_f64 v[30:31], v[28:29], -v[30:31]
	v_ldexp_f64 v[22:23], v[22:23], 1
	v_add_f64 v[26:27], v[26:27], -v[30:31]
	v_add_f64 v[22:23], v[22:23], v[26:27]
	v_frexp_exp_i32_f64_e32 v15, v[2:3]
	v_add_f64 v[26:27], v[28:29], v[22:23]
	v_subbrev_co_u32_e32 v15, vcc, 0, v15, vcc
	v_add_f64 v[28:29], v[26:27], -v[28:29]
	s_mov_b32 s14, 0xfefa39ef
	v_add_f64 v[22:23], v[22:23], -v[28:29]
	v_cvt_f64_i32_e32 v[28:29], v15
	s_mov_b32 s15, 0x3fe62e42
	v_mul_f64 v[30:31], v[28:29], s[14:15]
	v_fma_f64 v[32:33], v[28:29], s[14:15], -v[30:31]
	s_mov_b32 s14, 0x3b39803f
	s_mov_b32 s15, 0x3c7abc9e
	v_fmac_f64_e32 v[32:33], s[14:15], v[28:29]
	v_add_f64 v[28:29], v[30:31], v[32:33]
	v_add_f64 v[30:31], v[28:29], -v[30:31]
	v_add_f64 v[30:31], v[32:33], -v[30:31]
	v_add_f64 v[32:33], v[28:29], v[26:27]
	v_add_f64 v[34:35], v[32:33], -v[28:29]
	v_add_f64 v[36:37], v[32:33], -v[34:35]
	;; [unrolled: 1-line block ×4, first 2 shown]
	v_add_f64 v[26:27], v[26:27], v[28:29]
	v_add_f64 v[28:29], v[30:31], v[22:23]
	v_add_f64 v[34:35], v[28:29], -v[30:31]
	v_add_f64 v[36:37], v[28:29], -v[34:35]
	v_add_f64 v[26:27], v[28:29], v[26:27]
	v_add_f64 v[30:31], v[30:31], -v[36:37]
	v_add_f64 v[22:23], v[22:23], -v[34:35]
	v_add_f64 v[28:29], v[32:33], v[26:27]
	v_add_f64 v[22:23], v[22:23], v[30:31]
	v_add_f64 v[30:31], v[28:29], -v[32:33]
	v_add_f64 v[26:27], v[26:27], -v[30:31]
	s_mov_b32 s14, 0
	v_add_f64 v[22:23], v[22:23], v[26:27]
	s_mov_b32 s15, 0x7ff00000
	v_add_f64 v[22:23], v[28:29], v[22:23]
	v_cmp_eq_f64_e32 vcc, s[14:15], v[2:3]
	v_cndmask_b32_e32 v15, v22, v2, vcc
	v_cndmask_b32_e32 v22, v23, v3, vcc
	v_mov_b32_e32 v23, 0xfff00000
	v_cmp_neq_f64_e32 vcc, 0, v[2:3]
	v_cndmask_b32_e32 v3, v23, v22, vcc
	v_cndmask_b32_e32 v2, 0, v15, vcc
	v_mul_f64 v[2:3], v[2:3], v[20:21]
	v_fma_f64 v[2:3], v[18:19], 0.5, -v[2:3]
	v_mul_f64 v[10:11], v[10:11], v[2:3]
                                        ; implicit-def: $vgpr18_vgpr19
.LBB0_45:
	s_andn2_saveexec_b64 s[12:13], s[12:13]
	s_cbranch_execz .LBB0_47
; %bb.46:
	s_mov_b32 s14, 0
	s_mov_b32 s15, 0x40200000
	v_div_scale_f64 v[2:3], s[18:19], v[18:19], v[18:19], s[14:15]
	v_rcp_f64_e32 v[10:11], v[2:3]
	s_mov_b32 s18, 0
	s_brev_b32 s19, 8
	v_mov_b32_e32 v15, 0xffffff80
	v_fma_f64 v[20:21], -v[2:3], v[10:11], 1.0
	v_fmac_f64_e32 v[10:11], v[10:11], v[20:21]
	v_fma_f64 v[20:21], -v[2:3], v[10:11], 1.0
	v_fmac_f64_e32 v[10:11], v[10:11], v[20:21]
	v_div_scale_f64 v[20:21], vcc, s[14:15], v[18:19], s[14:15]
	v_mul_f64 v[22:23], v[20:21], v[10:11]
	v_fma_f64 v[2:3], -v[2:3], v[22:23], v[20:21]
	v_mov_b32_e32 v20, 0xcf8c9ee1
	s_nop 0
	v_div_fmas_f64 v[2:3], v[2:3], v[10:11], v[22:23]
	v_div_fixup_f64 v[2:3], v[2:3], v[18:19], s[14:15]
	s_mov_b32 s14, 0xcf8c9ee1
	v_add_f64 v[2:3], v[2:3], -2.0
	v_mov_b32_e32 v10, 0x93812603
	v_mov_b32_e32 v11, 0xbc72fecc
	s_mov_b32 s15, 0x3c5871a5
	v_fmac_f64_e32 v[10:11], s[14:15], v[2:3]
	v_mov_b32_e32 v21, 0xbc5871a5
	s_mov_b32 s14, 0x41a8cdf4
	v_fmac_f64_e32 v[20:21], v[2:3], v[10:11]
	s_mov_b32 s15, 0x3c8e092e
	v_add_f64 v[20:21], v[20:21], s[14:15]
	s_mov_b32 s14, 0x74d77641
	v_fma_f64 v[10:11], v[2:3], v[20:21], -v[10:11]
	s_mov_b32 s15, 0xbca82f94
	v_add_f64 v[10:11], v[10:11], s[14:15]
	s_mov_b32 s14, 0x6b94785b
	v_fma_f64 v[20:21], v[2:3], v[10:11], -v[20:21]
	;; [unrolled: 4-line block ×21, first 2 shown]
	s_mov_b32 s15, 0xbfa019f7
	v_add_f64 v[10:11], v[10:11], s[14:15]
	v_cmp_gt_f64_e32 vcc, s[18:19], v[18:19]
	v_fma_f64 v[2:3], v[2:3], v[10:11], -v[20:21]
	v_cndmask_b32_e64 v10, 0, 1, vcc
	v_lshlrev_b32_e32 v10, 8, v10
	v_ldexp_f64 v[10:11], v[18:19], v10
	v_rsq_f64_e32 v[18:19], v[10:11]
	s_mov_b32 s14, 0x9f4e6907
	s_mov_b32 s15, 0x400385bd
	v_add_f64 v[2:3], v[2:3], s[14:15]
	v_add_f64 v[2:3], v[2:3], -v[20:21]
	v_mul_f64 v[20:21], v[10:11], v[18:19]
	v_mul_f64 v[18:19], v[18:19], 0.5
	v_fma_f64 v[22:23], -v[18:19], v[20:21], 0.5
	v_fmac_f64_e32 v[20:21], v[20:21], v[22:23]
	v_fma_f64 v[26:27], -v[20:21], v[20:21], v[10:11]
	v_fmac_f64_e32 v[18:19], v[18:19], v[22:23]
	v_fmac_f64_e32 v[20:21], v[26:27], v[18:19]
	v_fma_f64 v[22:23], -v[20:21], v[20:21], v[10:11]
	v_fmac_f64_e32 v[20:21], v[22:23], v[18:19]
	v_cndmask_b32_e32 v15, 0, v15, vcc
	v_ldexp_f64 v[18:19], v[20:21], v15
	v_mov_b32_e32 v15, 0x260
	v_cmp_class_f64_e32 vcc, v[10:11], v15
	v_mul_f64 v[2:3], v[2:3], 0.5
	v_cndmask_b32_e32 v11, v19, v11, vcc
	v_cndmask_b32_e32 v10, v18, v10, vcc
	v_div_scale_f64 v[18:19], s[14:15], v[10:11], v[10:11], v[2:3]
	v_rcp_f64_e32 v[20:21], v[18:19]
	v_fma_f64 v[22:23], -v[18:19], v[20:21], 1.0
	v_fmac_f64_e32 v[20:21], v[20:21], v[22:23]
	v_fma_f64 v[22:23], -v[18:19], v[20:21], 1.0
	v_fmac_f64_e32 v[20:21], v[20:21], v[22:23]
	v_div_scale_f64 v[22:23], vcc, v[2:3], v[10:11], v[2:3]
	v_mul_f64 v[26:27], v[22:23], v[20:21]
	v_fma_f64 v[18:19], -v[18:19], v[26:27], v[22:23]
	s_nop 1
	v_div_fmas_f64 v[18:19], v[18:19], v[20:21], v[26:27]
	v_div_fixup_f64 v[10:11], v[18:19], v[10:11], v[2:3]
.LBB0_47:
	s_or_b64 exec, exec, s[12:13]
.LBB0_48:
	s_or_b64 exec, exec, s[10:11]
.LBB0_49:
	s_or_b64 exec, exec, s[8:9]
.LBB0_50:
	s_or_b64 exec, exec, s[6:7]
	v_add_u32_e32 v2, 0x300, v5
	v_cmp_lt_i32_e32 vcc, v2, v4
	s_and_saveexec_b64 s[6:7], vcc
	s_cbranch_execnz .LBB0_56
; %bb.51:
	s_or_b64 exec, exec, s[6:7]
	s_and_saveexec_b64 s[6:7], s[4:5]
	s_xor_b64 s[4:5], exec, s[6:7]
	s_cbranch_execnz .LBB0_69
.LBB0_52:
	s_or_b64 exec, exec, s[4:5]
	v_cmp_lt_i32_e32 vcc, v5, v4
	s_and_saveexec_b64 s[4:5], vcc
	s_cbranch_execnz .LBB0_70
.LBB0_53:
	s_or_b64 exec, exec, s[4:5]
	v_cmp_lt_i32_e32 vcc, v5, v4
	s_and_saveexec_b64 s[4:5], vcc
	s_cbranch_execnz .LBB0_71
.LBB0_54:
	s_or_b64 exec, exec, s[4:5]
	v_cmp_lt_i32_e32 vcc, v5, v4
	s_and_saveexec_b64 s[4:5], vcc
	s_cbranch_execnz .LBB0_72
.LBB0_55:
	s_or_b64 exec, exec, s[4:5]
	s_waitcnt vmcnt(0) lgkmcnt(0)
	s_setpc_b64 s[30:31]
.LBB0_56:
	v_mov_b32_e32 v12, 0
	s_waitcnt vmcnt(0) lgkmcnt(0)
	v_cmp_neq_f64_e32 vcc, 0, v[16:17]
	v_mov_b32_e32 v13, 0x7ff00000
	s_and_saveexec_b64 s[8:9], vcc
	s_cbranch_execz .LBB0_68
; %bb.57:
	v_mov_b32_e32 v12, 0
	v_cmp_ngt_f64_e32 vcc, 0, v[16:17]
	v_mov_b32_e32 v13, 0x7ff80000
	s_and_saveexec_b64 s[10:11], vcc
	s_cbranch_execz .LBB0_67
; %bb.58:
	v_cmp_ge_f64_e32 vcc, 2.0, v[16:17]
	s_and_saveexec_b64 s[12:13], vcc
	s_xor_b64 s[12:13], exec, s[12:13]
	s_cbranch_execz .LBB0_64
; %bb.59:
	s_mov_b32 s14, 0
	s_mov_b32 s15, 0x40200000
	v_mul_f64 v[2:3], v[16:17], 0.5
	v_cmp_ge_f64_e32 vcc, s[14:15], v[16:17]
                                        ; implicit-def: $vgpr18_vgpr19
                                        ; implicit-def: $vgpr12_vgpr13
	s_and_saveexec_b64 s[14:15], vcc
	s_xor_b64 s[14:15], exec, s[14:15]
	s_cbranch_execz .LBB0_61
; %bb.60:
	s_mov_b32 s18, 0x2134d0ef
	v_add_f64 v[12:13], v[2:3], -2.0
	v_mov_b32_e32 v18, 0x977da589
	v_mov_b32_e32 v19, 0x3c833362
	s_mov_b32 s19, 0xbc545cb7
	v_fmac_f64_e32 v[18:19], s[18:19], v[12:13]
	v_mov_b32_e32 v20, 0x2134d0ef
	v_mov_b32_e32 v21, 0x3c545cb7
	s_mov_b32 s18, 0x721ebbb4
	v_fmac_f64_e32 v[20:21], v[12:13], v[18:19]
	s_mov_b32 s19, 0xbcb184eb
	v_add_f64 v[20:21], v[20:21], s[18:19]
	s_mov_b32 s18, 0x93f65eba
	v_fma_f64 v[18:19], v[12:13], v[20:21], -v[18:19]
	s_mov_b32 s19, 0x3cdee6d8
	v_add_f64 v[18:19], v[18:19], s[18:19]
	s_mov_b32 s18, 0xc297fbeb
	v_fma_f64 v[20:21], v[12:13], v[18:19], -v[20:21]
	;; [unrolled: 4-line block ×27, first 2 shown]
	s_mov_b32 s19, 0x3fe5a84e
	v_add_f64 v[20:21], v[12:13], s[18:19]
	s_mov_b32 s18, 0x652b82fe
	s_mov_b32 s19, 0x3ff71547
	v_mul_f64 v[12:13], v[16:17], s[18:19]
	s_mov_b32 s18, 0xfefa39ef
	v_rndne_f64_e32 v[12:13], v[12:13]
	s_mov_b32 s19, 0xbfe62e42
	v_fma_f64 v[22:23], s[18:19], v[12:13], v[16:17]
	s_mov_b32 s18, 0x3b39803f
	s_mov_b32 s19, 0xbc7abc9e
	v_fmac_f64_e32 v[22:23], s[18:19], v[12:13]
	s_mov_b32 s18, 0x6a5dcb37
	v_mov_b32_e32 v26, 0xfca7ab0c
	v_mov_b32_e32 v27, 0x3e928af3
	s_mov_b32 s19, 0x3e5ade15
	v_fmac_f64_e32 v[26:27], s[18:19], v[22:23]
	v_mov_b32_e32 v28, 0x623fde64
	v_mov_b32_e32 v29, 0x3ec71dee
	v_fmac_f64_e32 v[28:29], v[22:23], v[26:27]
	v_mov_b32_e32 v26, 0x7c89e6b0
	v_mov_b32_e32 v27, 0x3efa0199
	;; [unrolled: 3-line block ×8, first 2 shown]
	v_fmac_f64_e32 v[26:27], v[22:23], v[28:29]
	v_fma_f64 v[26:27], v[22:23], v[26:27], 1.0
	s_mov_b32 s18, 0
	v_fma_f64 v[22:23], v[22:23], v[26:27], 1.0
	v_cvt_i32_f64_e32 v12, v[12:13]
	s_mov_b32 s19, 0x40900000
	v_ldexp_f64 v[12:13], v[22:23], v12
	v_mov_b32_e32 v15, 0x7ff00000
	v_cmp_nlt_f64_e32 vcc, s[18:19], v[16:17]
	v_add_f64 v[18:19], v[20:21], -v[18:19]
	v_cndmask_b32_e32 v13, v15, v13, vcc
	v_cndmask_b32_e32 v12, 0, v12, vcc
	v_mul_f64 v[18:19], v[18:19], 0.5
	v_mul_f64 v[18:19], v[12:13], v[18:19]
.LBB0_61:
	s_andn2_saveexec_b64 s[14:15], s[14:15]
	s_cbranch_execz .LBB0_63
; %bb.62:
	s_mov_b32 s18, 0
	s_mov_b32 s19, 0x40400000
	v_div_scale_f64 v[12:13], s[20:21], v[16:17], v[16:17], s[18:19]
	v_rcp_f64_e32 v[18:19], v[12:13]
	v_mov_b32_e32 v26, 0xfca7ab0c
	v_mov_b32_e32 v27, 0x3e928af3
	;; [unrolled: 1-line block ×3, first 2 shown]
	v_fma_f64 v[20:21], -v[12:13], v[18:19], 1.0
	v_fmac_f64_e32 v[18:19], v[18:19], v[20:21]
	v_fma_f64 v[20:21], -v[12:13], v[18:19], 1.0
	v_fmac_f64_e32 v[18:19], v[18:19], v[20:21]
	v_div_scale_f64 v[20:21], vcc, s[18:19], v[16:17], s[18:19]
	v_mul_f64 v[22:23], v[20:21], v[18:19]
	v_fma_f64 v[12:13], -v[12:13], v[22:23], v[20:21]
	v_mov_b32_e32 v20, 0x54ca8b19
	s_nop 0
	v_div_fmas_f64 v[12:13], v[12:13], v[18:19], v[22:23]
	v_div_fixup_f64 v[12:13], v[12:13], v[16:17], s[18:19]
	s_mov_b32 s18, 0x54ca8b19
	v_add_f64 v[12:13], v[12:13], -2.0
	v_mov_b32_e32 v18, 0x66119130
	v_mov_b32_e32 v19, 0xbc5646da
	s_mov_b32 s19, 0xbc60adb7
	v_fmac_f64_e32 v[18:19], s[18:19], v[12:13]
	v_mov_b32_e32 v21, 0x3c60adb7
	s_mov_b32 s18, 0x12d98421
	v_fmac_f64_e32 v[20:21], v[12:13], v[18:19]
	s_mov_b32 s19, 0x3c89be18
	v_add_f64 v[20:21], v[20:21], s[18:19]
	s_mov_b32 s18, 0x76041cd
	v_fma_f64 v[18:19], v[12:13], v[20:21], -v[18:19]
	s_mov_b32 s19, 0x3c83f3dd
	v_add_f64 v[18:19], v[18:19], s[18:19]
	s_mov_b32 s18, 0xabd21fe4
	v_fma_f64 v[20:21], v[12:13], v[18:19], -v[20:21]
	;; [unrolled: 4-line block ×22, first 2 shown]
	s_mov_b32 s19, 0x3fe9be62
	v_add_f64 v[18:19], v[12:13], s[18:19]
	s_mov_b32 s18, 0x652b82fe
	s_mov_b32 s19, 0x3ff71547
	v_mul_f64 v[12:13], v[16:17], s[18:19]
	s_mov_b32 s18, 0xfefa39ef
	v_rndne_f64_e32 v[12:13], v[12:13]
	s_mov_b32 s19, 0xbfe62e42
	v_fma_f64 v[22:23], s[18:19], v[12:13], v[16:17]
	s_mov_b32 s18, 0x3b39803f
	s_mov_b32 s19, 0xbc7abc9e
	v_fmac_f64_e32 v[22:23], s[18:19], v[12:13]
	s_mov_b32 s18, 0x6a5dcb37
	s_mov_b32 s19, 0x3e5ade15
	v_fmac_f64_e32 v[26:27], s[18:19], v[22:23]
	v_mov_b32_e32 v29, 0x3ec71dee
	v_fmac_f64_e32 v[28:29], v[22:23], v[26:27]
	v_mov_b32_e32 v26, 0x7c89e6b0
	v_mov_b32_e32 v27, 0x3efa0199
	v_fmac_f64_e32 v[26:27], v[22:23], v[28:29]
	v_mov_b32_e32 v28, 0x14761f6e
	;; [unrolled: 3-line block ×7, first 2 shown]
	v_mov_b32_e32 v27, 0x3fe00000
	v_fmac_f64_e32 v[26:27], v[22:23], v[28:29]
	s_mov_b32 s18, 0
	v_fma_f64 v[26:27], v[22:23], v[26:27], 1.0
	s_mov_b32 s19, 0x40900000
	v_fma_f64 v[22:23], v[22:23], v[26:27], 1.0
	v_cvt_i32_f64_e32 v12, v[12:13]
	v_cmp_nlt_f64_e32 vcc, s[18:19], v[16:17]
	s_mov_b32 s18, 0
	v_ldexp_f64 v[12:13], v[22:23], v12
	v_mov_b32_e32 v15, 0x7ff00000
	s_brev_b32 s19, 8
	v_cndmask_b32_e32 v13, v15, v13, vcc
	v_cndmask_b32_e32 v12, 0, v12, vcc
	v_cmp_gt_f64_e32 vcc, s[18:19], v[16:17]
	v_cndmask_b32_e64 v15, 0, 1, vcc
	v_lshlrev_b32_e32 v15, 8, v15
	v_ldexp_f64 v[22:23], v[16:17], v15
	v_rsq_f64_e32 v[26:27], v[22:23]
	v_add_f64 v[18:19], v[18:19], -v[20:21]
	v_mov_b32_e32 v15, 0xffffff80
	v_cndmask_b32_e32 v15, 0, v15, vcc
	v_mul_f64 v[20:21], v[22:23], v[26:27]
	v_mul_f64 v[26:27], v[26:27], 0.5
	v_fma_f64 v[28:29], -v[26:27], v[20:21], 0.5
	v_fmac_f64_e32 v[20:21], v[20:21], v[28:29]
	v_fma_f64 v[30:31], -v[20:21], v[20:21], v[22:23]
	v_fmac_f64_e32 v[26:27], v[26:27], v[28:29]
	v_fmac_f64_e32 v[20:21], v[30:31], v[26:27]
	v_fma_f64 v[28:29], -v[20:21], v[20:21], v[22:23]
	v_fmac_f64_e32 v[20:21], v[28:29], v[26:27]
	v_ldexp_f64 v[20:21], v[20:21], v15
	v_mov_b32_e32 v15, 0x260
	v_mul_f64 v[18:19], v[18:19], 0.5
	v_cmp_class_f64_e32 vcc, v[22:23], v15
	v_mul_f64 v[18:19], v[12:13], v[18:19]
	v_cndmask_b32_e32 v21, v21, v23, vcc
	v_cndmask_b32_e32 v20, v20, v22, vcc
	v_div_scale_f64 v[22:23], s[18:19], v[20:21], v[20:21], v[18:19]
	v_rcp_f64_e32 v[26:27], v[22:23]
	v_fma_f64 v[28:29], -v[22:23], v[26:27], 1.0
	v_fmac_f64_e32 v[26:27], v[26:27], v[28:29]
	v_fma_f64 v[28:29], -v[22:23], v[26:27], 1.0
	v_fmac_f64_e32 v[26:27], v[26:27], v[28:29]
	v_div_scale_f64 v[28:29], vcc, v[18:19], v[20:21], v[18:19]
	v_mul_f64 v[30:31], v[28:29], v[26:27]
	v_fma_f64 v[22:23], -v[22:23], v[30:31], v[28:29]
	s_nop 1
	v_div_fmas_f64 v[22:23], v[22:23], v[26:27], v[30:31]
	v_div_fixup_f64 v[18:19], v[22:23], v[20:21], v[18:19]
.LBB0_63:
	s_or_b64 exec, exec, s[14:15]
	s_mov_b32 s14, 0xe6a7fd77
	v_fma_f64 v[16:17], v[16:17], v[16:17], -2.0
	v_mov_b32_e32 v20, 0xc384c2aa
	v_mov_b32_e32 v21, 0x3d27fb0a
	s_mov_b32 s15, 0x3ca3cee1
	v_fmac_f64_e32 v[20:21], s[14:15], v[16:17]
	v_mov_b32_e32 v22, 0xe6a7fd77
	v_mov_b32_e32 v23, 0xbca3cee1
	s_mov_b32 s14, 0x47512144
	v_fmac_f64_e32 v[22:23], v[16:17], v[20:21]
	s_mov_b32 s15, 0x3da6c25c
	v_add_f64 v[22:23], v[22:23], s[14:15]
	s_mov_b32 s14, 0x67e58a13
	v_fma_f64 v[20:21], v[16:17], v[22:23], -v[20:21]
	s_mov_b32 s15, 0x3e205c13
	v_add_f64 v[20:21], v[20:21], s[14:15]
	s_mov_b32 s14, 0xe7f95efc
	v_fma_f64 v[22:23], v[16:17], v[20:21], -v[22:23]
	s_mov_b32 s15, 0x3e9102bc
	v_add_f64 v[22:23], v[22:23], s[14:15]
	s_mov_b32 s14, 0xfe8cfca0
	v_fma_f64 v[20:21], v[16:17], v[22:23], -v[20:21]
	s_mov_b32 s15, 0x3ef7f900
	v_add_f64 v[20:21], v[20:21], s[14:15]
	s_mov_b32 s14, 0x75633d73
	v_fma_f64 v[22:23], v[16:17], v[20:21], -v[22:23]
	s_mov_b32 s15, 0x3f54b82e
	v_add_f64 v[22:23], v[22:23], s[14:15]
	s_mov_b32 s14, 0x554a9085
	v_fma_f64 v[20:21], v[16:17], v[22:23], -v[20:21]
	s_mov_b32 s15, 0x3fa26bf6
	v_add_f64 v[20:21], v[20:21], s[14:15]
	s_mov_b32 s14, 0x81213db9
	v_fma_f64 v[22:23], v[16:17], v[20:21], -v[22:23]
	s_mov_b32 s15, 0x3fd608d8
	v_add_f64 v[22:23], v[22:23], s[14:15]
	s_mov_b32 s14, 0xe9d2f61f
	v_fma_f64 v[16:17], v[16:17], v[22:23], -v[20:21]
	s_mov_b32 s15, 0xbfe12166
	v_add_f64 v[16:17], v[16:17], s[14:15]
	s_mov_b32 s14, 0x55555555
	v_add_f64 v[16:17], v[16:17], -v[20:21]
	v_frexp_mant_f64_e32 v[20:21], v[2:3]
	s_mov_b32 s15, 0x3fe55555
	v_mov_b32_e32 v22, 0x3ff00000
	v_cmp_gt_f64_e32 vcc, s[14:15], v[20:21]
	v_cndmask_b32_e64 v23, v22, 2.0, vcc
	v_mov_b32_e32 v22, 0
	v_mul_f64 v[20:21], v[20:21], v[22:23]
	v_add_f64 v[22:23], v[20:21], 1.0
	v_rcp_f64_e32 v[26:27], v[22:23]
	v_add_f64 v[30:31], v[22:23], -1.0
	v_add_f64 v[28:29], v[20:21], -1.0
	v_add_f64 v[20:21], v[20:21], -v[30:31]
	v_fma_f64 v[30:31], -v[22:23], v[26:27], 1.0
	v_fmac_f64_e32 v[26:27], v[30:31], v[26:27]
	v_fma_f64 v[30:31], -v[22:23], v[26:27], 1.0
	v_fmac_f64_e32 v[26:27], v[30:31], v[26:27]
	v_mul_f64 v[30:31], v[28:29], v[26:27]
	v_mul_f64 v[32:33], v[22:23], v[30:31]
	v_fma_f64 v[22:23], v[30:31], v[22:23], -v[32:33]
	v_fmac_f64_e32 v[22:23], v[30:31], v[20:21]
	v_add_f64 v[20:21], v[32:33], v[22:23]
	v_add_f64 v[34:35], v[28:29], -v[20:21]
	v_add_f64 v[32:33], v[20:21], -v[32:33]
	;; [unrolled: 1-line block ×5, first 2 shown]
	v_add_f64 v[20:21], v[22:23], v[20:21]
	v_add_f64 v[20:21], v[34:35], v[20:21]
	v_mul_f64 v[20:21], v[26:27], v[20:21]
	v_add_f64 v[22:23], v[30:31], v[20:21]
	v_add_f64 v[26:27], v[22:23], -v[30:31]
	s_mov_b32 s14, 0xbf559e2b
	v_add_f64 v[20:21], v[20:21], -v[26:27]
	v_mul_f64 v[26:27], v[22:23], v[22:23]
	v_mov_b32_e32 v28, 0x6b47b09a
	v_mov_b32_e32 v29, 0x3fc38538
	s_mov_b32 s15, 0x3fc3ab76
	v_fmac_f64_e32 v[28:29], s[14:15], v[26:27]
	v_mov_b32_e32 v30, 0xd7f4df2e
	v_mov_b32_e32 v31, 0x3fc7474d
	v_fmac_f64_e32 v[30:31], v[26:27], v[28:29]
	v_mov_b32_e32 v28, 0x16291751
	v_mov_b32_e32 v29, 0x3fcc71c0
	;; [unrolled: 3-line block ×5, first 2 shown]
	v_fmac_f64_e32 v[30:31], v[26:27], v[28:29]
	v_ldexp_f64 v[28:29], v[22:23], 1
	v_mul_f64 v[22:23], v[22:23], v[26:27]
	v_mul_f64 v[22:23], v[22:23], v[30:31]
	v_add_f64 v[26:27], v[28:29], v[22:23]
	v_add_f64 v[28:29], v[26:27], -v[28:29]
	v_ldexp_f64 v[20:21], v[20:21], 1
	v_add_f64 v[22:23], v[22:23], -v[28:29]
	v_add_f64 v[20:21], v[20:21], v[22:23]
	v_frexp_exp_i32_f64_e32 v15, v[2:3]
	v_add_f64 v[22:23], v[26:27], v[20:21]
	v_subbrev_co_u32_e32 v15, vcc, 0, v15, vcc
	v_add_f64 v[26:27], v[22:23], -v[26:27]
	s_mov_b32 s14, 0xfefa39ef
	v_add_f64 v[20:21], v[20:21], -v[26:27]
	v_cvt_f64_i32_e32 v[26:27], v15
	s_mov_b32 s15, 0x3fe62e42
	v_mul_f64 v[28:29], v[26:27], s[14:15]
	v_fma_f64 v[30:31], v[26:27], s[14:15], -v[28:29]
	s_mov_b32 s14, 0x3b39803f
	s_mov_b32 s15, 0x3c7abc9e
	v_fmac_f64_e32 v[30:31], s[14:15], v[26:27]
	v_add_f64 v[26:27], v[28:29], v[30:31]
	v_add_f64 v[28:29], v[26:27], -v[28:29]
	v_add_f64 v[28:29], v[30:31], -v[28:29]
	v_add_f64 v[30:31], v[26:27], v[22:23]
	v_add_f64 v[32:33], v[30:31], -v[26:27]
	v_add_f64 v[34:35], v[30:31], -v[32:33]
	;; [unrolled: 1-line block ×4, first 2 shown]
	v_add_f64 v[22:23], v[22:23], v[26:27]
	v_add_f64 v[26:27], v[28:29], v[20:21]
	v_add_f64 v[32:33], v[26:27], -v[28:29]
	v_add_f64 v[34:35], v[26:27], -v[32:33]
	v_add_f64 v[22:23], v[26:27], v[22:23]
	v_add_f64 v[28:29], v[28:29], -v[34:35]
	v_add_f64 v[20:21], v[20:21], -v[32:33]
	v_add_f64 v[26:27], v[30:31], v[22:23]
	v_add_f64 v[20:21], v[20:21], v[28:29]
	v_add_f64 v[28:29], v[26:27], -v[30:31]
	v_add_f64 v[22:23], v[22:23], -v[28:29]
	s_mov_b32 s14, 0
	v_add_f64 v[20:21], v[20:21], v[22:23]
	s_mov_b32 s15, 0x7ff00000
	v_add_f64 v[20:21], v[26:27], v[20:21]
	v_cmp_eq_f64_e32 vcc, s[14:15], v[2:3]
	v_cndmask_b32_e32 v15, v20, v2, vcc
	v_cndmask_b32_e32 v20, v21, v3, vcc
	v_mov_b32_e32 v21, 0xfff00000
	v_cmp_neq_f64_e32 vcc, 0, v[2:3]
	v_cndmask_b32_e32 v3, v21, v20, vcc
	v_cndmask_b32_e32 v2, 0, v15, vcc
	v_mul_f64 v[2:3], v[2:3], v[18:19]
	v_fma_f64 v[2:3], v[16:17], 0.5, -v[2:3]
	v_mul_f64 v[12:13], v[12:13], v[2:3]
                                        ; implicit-def: $vgpr16_vgpr17
.LBB0_64:
	s_andn2_saveexec_b64 s[12:13], s[12:13]
	s_cbranch_execz .LBB0_66
; %bb.65:
	s_mov_b32 s14, 0
	s_mov_b32 s15, 0x40200000
	v_div_scale_f64 v[2:3], s[18:19], v[16:17], v[16:17], s[14:15]
	v_rcp_f64_e32 v[12:13], v[2:3]
	s_mov_b32 s18, 0
	s_brev_b32 s19, 8
	v_mov_b32_e32 v15, 0xffffff80
	v_fma_f64 v[18:19], -v[2:3], v[12:13], 1.0
	v_fmac_f64_e32 v[12:13], v[12:13], v[18:19]
	v_fma_f64 v[18:19], -v[2:3], v[12:13], 1.0
	v_fmac_f64_e32 v[12:13], v[12:13], v[18:19]
	v_div_scale_f64 v[18:19], vcc, s[14:15], v[16:17], s[14:15]
	v_mul_f64 v[20:21], v[18:19], v[12:13]
	v_fma_f64 v[2:3], -v[2:3], v[20:21], v[18:19]
	v_mov_b32_e32 v18, 0xcf8c9ee1
	s_nop 0
	v_div_fmas_f64 v[2:3], v[2:3], v[12:13], v[20:21]
	v_div_fixup_f64 v[2:3], v[2:3], v[16:17], s[14:15]
	s_mov_b32 s14, 0xcf8c9ee1
	v_add_f64 v[2:3], v[2:3], -2.0
	v_mov_b32_e32 v12, 0x93812603
	v_mov_b32_e32 v13, 0xbc72fecc
	s_mov_b32 s15, 0x3c5871a5
	v_fmac_f64_e32 v[12:13], s[14:15], v[2:3]
	v_mov_b32_e32 v19, 0xbc5871a5
	s_mov_b32 s14, 0x41a8cdf4
	v_fmac_f64_e32 v[18:19], v[2:3], v[12:13]
	s_mov_b32 s15, 0x3c8e092e
	v_add_f64 v[18:19], v[18:19], s[14:15]
	s_mov_b32 s14, 0x74d77641
	v_fma_f64 v[12:13], v[2:3], v[18:19], -v[12:13]
	s_mov_b32 s15, 0xbca82f94
	v_add_f64 v[12:13], v[12:13], s[14:15]
	s_mov_b32 s14, 0x6b94785b
	v_fma_f64 v[18:19], v[2:3], v[12:13], -v[18:19]
	;; [unrolled: 4-line block ×21, first 2 shown]
	s_mov_b32 s15, 0xbfa019f7
	v_add_f64 v[12:13], v[12:13], s[14:15]
	v_cmp_gt_f64_e32 vcc, s[18:19], v[16:17]
	v_fma_f64 v[2:3], v[2:3], v[12:13], -v[18:19]
	v_cndmask_b32_e64 v12, 0, 1, vcc
	v_lshlrev_b32_e32 v12, 8, v12
	v_ldexp_f64 v[12:13], v[16:17], v12
	v_rsq_f64_e32 v[16:17], v[12:13]
	s_mov_b32 s14, 0x9f4e6907
	s_mov_b32 s15, 0x400385bd
	v_add_f64 v[2:3], v[2:3], s[14:15]
	v_add_f64 v[2:3], v[2:3], -v[18:19]
	v_mul_f64 v[18:19], v[12:13], v[16:17]
	v_mul_f64 v[16:17], v[16:17], 0.5
	v_fma_f64 v[20:21], -v[16:17], v[18:19], 0.5
	v_fmac_f64_e32 v[18:19], v[18:19], v[20:21]
	v_fma_f64 v[22:23], -v[18:19], v[18:19], v[12:13]
	v_fmac_f64_e32 v[16:17], v[16:17], v[20:21]
	v_fmac_f64_e32 v[18:19], v[22:23], v[16:17]
	v_fma_f64 v[20:21], -v[18:19], v[18:19], v[12:13]
	v_fmac_f64_e32 v[18:19], v[20:21], v[16:17]
	v_cndmask_b32_e32 v15, 0, v15, vcc
	v_ldexp_f64 v[16:17], v[18:19], v15
	v_mov_b32_e32 v15, 0x260
	v_cmp_class_f64_e32 vcc, v[12:13], v15
	v_mul_f64 v[2:3], v[2:3], 0.5
	v_cndmask_b32_e32 v13, v17, v13, vcc
	v_cndmask_b32_e32 v12, v16, v12, vcc
	v_div_scale_f64 v[16:17], s[14:15], v[12:13], v[12:13], v[2:3]
	v_rcp_f64_e32 v[18:19], v[16:17]
	v_fma_f64 v[20:21], -v[16:17], v[18:19], 1.0
	v_fmac_f64_e32 v[18:19], v[18:19], v[20:21]
	v_fma_f64 v[20:21], -v[16:17], v[18:19], 1.0
	v_fmac_f64_e32 v[18:19], v[18:19], v[20:21]
	v_div_scale_f64 v[20:21], vcc, v[2:3], v[12:13], v[2:3]
	v_mul_f64 v[22:23], v[20:21], v[18:19]
	v_fma_f64 v[16:17], -v[16:17], v[22:23], v[20:21]
	s_nop 1
	v_div_fmas_f64 v[16:17], v[16:17], v[18:19], v[22:23]
	v_div_fixup_f64 v[12:13], v[16:17], v[12:13], v[2:3]
.LBB0_66:
	s_or_b64 exec, exec, s[12:13]
.LBB0_67:
	s_or_b64 exec, exec, s[10:11]
.LBB0_68:
	s_or_b64 exec, exec, s[8:9]
	s_or_b64 exec, exec, s[6:7]
	s_and_saveexec_b64 s[6:7], s[4:5]
	s_xor_b64 s[4:5], exec, s[6:7]
	s_cbranch_execz .LBB0_52
.LBB0_69:
	v_mov_b32_e32 v15, 0
	v_lshlrev_b64 v[2:3], 3, v[14:15]
	v_add_co_u32_e32 v2, vcc, v0, v2
	v_addc_co_u32_e32 v3, vcc, v1, v3, vcc
	v_mov_b32_e32 v5, v24
	flat_store_dwordx2 v[2:3], v[6:7]
	s_or_b64 exec, exec, s[4:5]
	v_cmp_lt_i32_e32 vcc, v5, v4
	s_and_saveexec_b64 s[4:5], vcc
	s_cbranch_execz .LBB0_53
.LBB0_70:
	v_add_u32_e32 v2, s16, v5
	v_mov_b32_e32 v3, 0
	v_lshlrev_b64 v[2:3], 3, v[2:3]
	v_add_co_u32_e32 v2, vcc, v0, v2
	v_addc_co_u32_e32 v3, vcc, v1, v3, vcc
	v_add_u32_e32 v5, 0x100, v5
	flat_store_dwordx2 v[2:3], v[8:9]
	s_or_b64 exec, exec, s[4:5]
	v_cmp_lt_i32_e32 vcc, v5, v4
	s_and_saveexec_b64 s[4:5], vcc
	s_cbranch_execz .LBB0_54
.LBB0_71:
	v_add_u32_e32 v2, s16, v5
	v_mov_b32_e32 v3, 0
	v_lshlrev_b64 v[2:3], 3, v[2:3]
	v_add_co_u32_e32 v2, vcc, v0, v2
	v_addc_co_u32_e32 v3, vcc, v1, v3, vcc
	v_add_u32_e32 v5, 0x100, v5
	flat_store_dwordx2 v[2:3], v[10:11]
	s_or_b64 exec, exec, s[4:5]
	v_cmp_lt_i32_e32 vcc, v5, v4
	s_and_saveexec_b64 s[4:5], vcc
	s_cbranch_execz .LBB0_55
.LBB0_72:
	v_add_u32_e32 v2, s16, v5
	v_mov_b32_e32 v3, 0
	v_lshlrev_b64 v[2:3], 3, v[2:3]
	v_add_co_u32_e32 v0, vcc, v0, v2
	v_addc_co_u32_e32 v1, vcc, v1, v3, vcc
	flat_store_dwordx2 v[0:1], v[12:13]
	s_or_b64 exec, exec, s[4:5]
	s_waitcnt vmcnt(0) lgkmcnt(0)
	s_setpc_b64 s[30:31]
.Lfunc_end0:
	.size	_ZN2at6native25elementwise_kernel_helperILb0EZZZNS0_12_GLOBAL__N_137scaled_modified_bessel_k0_kernel_cudaERNS_18TensorIteratorBaseEENKUlvE_clEvENKUlvE_clEvEUldE_NS0_6memory8policies11unroll_baseILi256ESt5arrayIPcLm2EE23TrivialOffsetCalculatorILi1EjESF_NS8_15LoadWithoutCastENS8_16StoreWithoutCastELi4ELi1EEEEEvT0_T1_, .Lfunc_end0-_ZN2at6native25elementwise_kernel_helperILb0EZZZNS0_12_GLOBAL__N_137scaled_modified_bessel_k0_kernel_cudaERNS_18TensorIteratorBaseEENKUlvE_clEvENKUlvE_clEvEUldE_NS0_6memory8policies11unroll_baseILi256ESt5arrayIPcLm2EE23TrivialOffsetCalculatorILi1EjESF_NS8_15LoadWithoutCastENS8_16StoreWithoutCastELi4ELi1EEEEEvT0_T1_
                                        ; -- End function
	.section	.AMDGPU.csdata,"",@progbits
; Function info:
; codeLenInByte = 21000
; NumSgprs: 36
; NumVgprs: 40
; NumAgprs: 0
; TotalNumVgprs: 40
; ScratchSize: 0
; MemoryBound: 0
	.text
	.p2align	2                               ; -- Begin function _ZN2at6native25elementwise_kernel_helperILb0EZZZNS0_12_GLOBAL__N_137scaled_modified_bessel_k0_kernel_cudaERNS_18TensorIteratorBaseEENKUlvE_clEvENKUlvE_clEvEUldE_NS0_6memory8policies10vectorizedILi4ESt5arrayIPcLm2EELi4EEEEEvT0_T1_
	.type	_ZN2at6native25elementwise_kernel_helperILb0EZZZNS0_12_GLOBAL__N_137scaled_modified_bessel_k0_kernel_cudaERNS_18TensorIteratorBaseEENKUlvE_clEvENKUlvE_clEvEUldE_NS0_6memory8policies10vectorizedILi4ESt5arrayIPcLm2EELi4EEEEEvT0_T1_,@function
_ZN2at6native25elementwise_kernel_helperILb0EZZZNS0_12_GLOBAL__N_137scaled_modified_bessel_k0_kernel_cudaERNS_18TensorIteratorBaseEENKUlvE_clEvENKUlvE_clEvEUldE_NS0_6memory8policies10vectorizedILi4ESt5arrayIPcLm2EELi4EEEEEvT0_T1_: ; @_ZN2at6native25elementwise_kernel_helperILb0EZZZNS0_12_GLOBAL__N_137scaled_modified_bessel_k0_kernel_cudaERNS_18TensorIteratorBaseEENKUlvE_clEvENKUlvE_clEvEUldE_NS0_6memory8policies10vectorizedILi4ESt5arrayIPcLm2EELi4EEEEEvT0_T1_
; %bb.0:
	s_waitcnt vmcnt(0) expcnt(0) lgkmcnt(0)
	s_lshl_b32 s4, s12, 10
	s_ashr_i32 s5, s4, 31
	s_lshl_b64 s[4:5], s[4:5], 3
	v_mov_b32_e32 v4, s5
	v_add_co_u32_e32 v2, vcc, s4, v2
	v_addc_co_u32_e32 v3, vcc, v3, v4, vcc
	v_and_b32_e32 v4, 0x3ff, v31
	v_lshlrev_b32_e32 v18, 5, v4
	v_add_co_u32_e32 v2, vcc, v2, v18
	v_addc_co_u32_e32 v3, vcc, 0, v3, vcc
	flat_load_dwordx4 v[10:13], v[2:3]
	flat_load_dwordx4 v[6:9], v[2:3] offset:16
	v_mov_b32_e32 v4, 0
	v_mov_b32_e32 v5, 0x7ff00000
	v_pk_mov_b32 v[2:3], v[4:5], v[4:5] op_sel:[0,1]
	s_waitcnt vmcnt(0) lgkmcnt(0)
	v_cmp_neq_f64_e32 vcc, 0, v[10:11]
	s_and_saveexec_b64 s[6:7], vcc
	s_cbranch_execz .LBB1_12
; %bb.1:
	v_mov_b32_e32 v2, 0
	v_cmp_ngt_f64_e32 vcc, 0, v[10:11]
	v_mov_b32_e32 v3, 0x7ff80000
	s_and_saveexec_b64 s[8:9], vcc
	s_cbranch_execz .LBB1_11
; %bb.2:
	v_cmp_ge_f64_e32 vcc, 2.0, v[10:11]
	s_and_saveexec_b64 s[10:11], vcc
	s_xor_b64 s[10:11], exec, s[10:11]
	s_cbranch_execz .LBB1_8
; %bb.3:
	s_mov_b32 s12, 0
	s_mov_b32 s13, 0x40200000
	v_mul_f64 v[2:3], v[10:11], 0.5
	v_cmp_ge_f64_e32 vcc, s[12:13], v[10:11]
                                        ; implicit-def: $vgpr16_vgpr17
                                        ; implicit-def: $vgpr14_vgpr15
	s_and_saveexec_b64 s[12:13], vcc
	s_xor_b64 s[12:13], exec, s[12:13]
	s_cbranch_execz .LBB1_5
; %bb.4:
	s_mov_b32 s14, 0x2134d0ef
	v_add_f64 v[14:15], v[2:3], -2.0
	v_mov_b32_e32 v16, 0x977da589
	v_mov_b32_e32 v17, 0x3c833362
	s_mov_b32 s15, 0xbc545cb7
	v_fmac_f64_e32 v[16:17], s[14:15], v[14:15]
	v_mov_b32_e32 v20, 0x2134d0ef
	v_mov_b32_e32 v21, 0x3c545cb7
	s_mov_b32 s14, 0x721ebbb4
	v_fmac_f64_e32 v[20:21], v[14:15], v[16:17]
	s_mov_b32 s15, 0xbcb184eb
	v_add_f64 v[20:21], v[20:21], s[14:15]
	s_mov_b32 s14, 0x93f65eba
	v_fma_f64 v[16:17], v[14:15], v[20:21], -v[16:17]
	s_mov_b32 s15, 0x3cdee6d8
	v_add_f64 v[16:17], v[16:17], s[14:15]
	s_mov_b32 s14, 0xc297fbeb
	v_fma_f64 v[20:21], v[14:15], v[16:17], -v[20:21]
	;; [unrolled: 4-line block ×27, first 2 shown]
	s_mov_b32 s15, 0x3fe5a84e
	v_add_f64 v[20:21], v[14:15], s[14:15]
	s_mov_b32 s14, 0x652b82fe
	s_mov_b32 s15, 0x3ff71547
	v_mul_f64 v[14:15], v[10:11], s[14:15]
	s_mov_b32 s14, 0xfefa39ef
	v_rndne_f64_e32 v[14:15], v[14:15]
	s_mov_b32 s15, 0xbfe62e42
	v_fma_f64 v[22:23], s[14:15], v[14:15], v[10:11]
	s_mov_b32 s14, 0x3b39803f
	s_mov_b32 s15, 0xbc7abc9e
	v_fmac_f64_e32 v[22:23], s[14:15], v[14:15]
	s_mov_b32 s14, 0x6a5dcb37
	v_mov_b32_e32 v24, 0xfca7ab0c
	v_mov_b32_e32 v25, 0x3e928af3
	s_mov_b32 s15, 0x3e5ade15
	v_fmac_f64_e32 v[24:25], s[14:15], v[22:23]
	v_mov_b32_e32 v26, 0x623fde64
	v_mov_b32_e32 v27, 0x3ec71dee
	v_fmac_f64_e32 v[26:27], v[22:23], v[24:25]
	v_mov_b32_e32 v24, 0x7c89e6b0
	v_mov_b32_e32 v25, 0x3efa0199
	;; [unrolled: 3-line block ×8, first 2 shown]
	v_fmac_f64_e32 v[24:25], v[22:23], v[26:27]
	v_fma_f64 v[24:25], v[22:23], v[24:25], 1.0
	s_mov_b32 s14, 0
	v_fma_f64 v[22:23], v[22:23], v[24:25], 1.0
	v_cvt_i32_f64_e32 v14, v[14:15]
	s_mov_b32 s15, 0x40900000
	v_ldexp_f64 v[14:15], v[22:23], v14
	v_mov_b32_e32 v19, 0x7ff00000
	v_cmp_nlt_f64_e32 vcc, s[14:15], v[10:11]
	v_add_f64 v[16:17], v[20:21], -v[16:17]
	v_cndmask_b32_e32 v15, v19, v15, vcc
	v_cndmask_b32_e32 v14, 0, v14, vcc
	v_mul_f64 v[16:17], v[16:17], 0.5
	v_mul_f64 v[16:17], v[14:15], v[16:17]
.LBB1_5:
	s_andn2_saveexec_b64 s[12:13], s[12:13]
	s_cbranch_execz .LBB1_7
; %bb.6:
	s_mov_b32 s14, 0
	s_mov_b32 s15, 0x40400000
	v_div_scale_f64 v[14:15], s[16:17], v[10:11], v[10:11], s[14:15]
	v_rcp_f64_e32 v[16:17], v[14:15]
	v_mov_b32_e32 v24, 0xfca7ab0c
	v_mov_b32_e32 v25, 0x3e928af3
	;; [unrolled: 1-line block ×3, first 2 shown]
	v_fma_f64 v[20:21], -v[14:15], v[16:17], 1.0
	v_fmac_f64_e32 v[16:17], v[16:17], v[20:21]
	v_fma_f64 v[20:21], -v[14:15], v[16:17], 1.0
	v_fmac_f64_e32 v[16:17], v[16:17], v[20:21]
	v_div_scale_f64 v[20:21], vcc, s[14:15], v[10:11], s[14:15]
	v_mul_f64 v[22:23], v[20:21], v[16:17]
	v_fma_f64 v[14:15], -v[14:15], v[22:23], v[20:21]
	v_mov_b32_e32 v20, 0x54ca8b19
	s_nop 0
	v_div_fmas_f64 v[14:15], v[14:15], v[16:17], v[22:23]
	v_div_fixup_f64 v[14:15], v[14:15], v[10:11], s[14:15]
	s_mov_b32 s14, 0x54ca8b19
	v_add_f64 v[14:15], v[14:15], -2.0
	v_mov_b32_e32 v16, 0x66119130
	v_mov_b32_e32 v17, 0xbc5646da
	s_mov_b32 s15, 0xbc60adb7
	v_fmac_f64_e32 v[16:17], s[14:15], v[14:15]
	v_mov_b32_e32 v21, 0x3c60adb7
	s_mov_b32 s14, 0x12d98421
	v_fmac_f64_e32 v[20:21], v[14:15], v[16:17]
	s_mov_b32 s15, 0x3c89be18
	v_add_f64 v[20:21], v[20:21], s[14:15]
	s_mov_b32 s14, 0x76041cd
	v_fma_f64 v[16:17], v[14:15], v[20:21], -v[16:17]
	s_mov_b32 s15, 0x3c83f3dd
	v_add_f64 v[16:17], v[16:17], s[14:15]
	s_mov_b32 s14, 0xabd21fe4
	v_fma_f64 v[20:21], v[14:15], v[16:17], -v[20:21]
	s_mov_b32 s15, 0xbcb4600b
	v_add_f64 v[20:21], v[20:21], s[14:15]
	s_mov_b32 s14, 0xd908de38
	v_fma_f64 v[16:17], v[14:15], v[20:21], -v[16:17]
	s_mov_b32 s15, 0xbcb8aee7
	v_add_f64 v[16:17], v[16:17], s[14:15]
	s_mov_b32 s14, 0xa3eafb1f
	v_fma_f64 v[20:21], v[14:15], v[16:17], -v[20:21]
	s_mov_b32 s15, 0x3cdfee7d
	v_add_f64 v[20:21], v[20:21], s[14:15]
	s_mov_b32 s14, 0x9094e6d7
	v_fma_f64 v[16:17], v[14:15], v[20:21], -v[16:17]
	s_mov_b32 s15, 0x3cf12a91
	v_add_f64 v[16:17], v[16:17], s[14:15]
	s_mov_b32 s14, 0x7e65629a
	v_fma_f64 v[20:21], v[14:15], v[16:17], -v[20:21]
	s_mov_b32 s15, 0xbd0583fe
	v_add_f64 v[20:21], v[20:21], s[14:15]
	s_mov_b32 s14, 0xcf68bb32
	v_fma_f64 v[16:17], v[14:15], v[20:21], -v[16:17]
	s_mov_b32 s15, 0xbd275d99
	v_add_f64 v[16:17], v[16:17], s[14:15]
	s_mov_b32 s14, 0xd5fc545
	v_fma_f64 v[20:21], v[14:15], v[16:17], -v[20:21]
	s_mov_b32 s15, 0x3d1156ff
	v_add_f64 v[20:21], v[20:21], s[14:15]
	s_mov_b32 s14, 0x6b83c073
	v_fma_f64 v[16:17], v[14:15], v[20:21], -v[16:17]
	s_mov_b32 s15, 0x3d5b1c8c
	v_add_f64 v[16:17], v[16:17], s[14:15]
	s_mov_b32 s14, 0xfa268cec
	v_fma_f64 v[20:21], v[14:15], v[16:17], -v[20:21]
	s_mov_b32 s15, 0x3d694347
	v_add_f64 v[20:21], v[20:21], s[14:15]
	s_mov_b32 s14, 0x3178d66
	v_fma_f64 v[16:17], v[14:15], v[20:21], -v[16:17]
	s_mov_b32 s15, 0xbd7f9043
	v_add_f64 v[16:17], v[16:17], s[14:15]
	s_mov_b32 s14, 0x357e7bf2
	v_fma_f64 v[20:21], v[14:15], v[16:17], -v[20:21]
	s_mov_b32 s15, 0xbdad0fd7
	v_add_f64 v[20:21], v[20:21], s[14:15]
	s_mov_b32 s14, 0x8397425
	v_fma_f64 v[16:17], v[14:15], v[20:21], -v[16:17]
	s_mov_b32 s15, 0xbdc1511d
	v_add_f64 v[16:17], v[16:17], s[14:15]
	s_mov_b32 s14, 0xabe8004f
	v_fma_f64 v[20:21], v[14:15], v[16:17], -v[20:21]
	s_mov_b32 s15, 0x3daa24fe
	v_add_f64 v[20:21], v[20:21], s[14:15]
	s_mov_b32 s14, 0xc0f46f75
	v_fma_f64 v[16:17], v[14:15], v[20:21], -v[16:17]
	s_mov_b32 s15, 0x3e00f9cc
	v_add_f64 v[16:17], v[16:17], s[14:15]
	s_mov_b32 s14, 0xa9225b87
	v_fma_f64 v[20:21], v[14:15], v[16:17], -v[20:21]
	s_mov_b32 s15, 0x3e2d2c64
	v_add_f64 v[20:21], v[20:21], s[14:15]
	s_mov_b32 s14, 0x80d6d56d
	v_fma_f64 v[16:17], v[14:15], v[20:21], -v[16:17]
	s_mov_b32 s15, 0x3e585692
	v_add_f64 v[16:17], v[16:17], s[14:15]
	s_mov_b32 s14, 0xd9cd616e
	v_fma_f64 v[20:21], v[14:15], v[16:17], -v[20:21]
	s_mov_b32 s15, 0x3e8b8007
	v_add_f64 v[20:21], v[20:21], s[14:15]
	s_mov_b32 s14, 0xc101c586
	v_fma_f64 v[16:17], v[14:15], v[20:21], -v[16:17]
	s_mov_b32 s15, 0x3ec8412b
	v_add_f64 v[16:17], v[16:17], s[14:15]
	s_mov_b32 s14, 0x78999e52
	v_fma_f64 v[20:21], v[14:15], v[16:17], -v[20:21]
	s_mov_b32 s15, 0x3f120fa3
	v_add_f64 v[20:21], v[20:21], s[14:15]
	s_mov_b32 s14, 0xa2e59049
	v_fma_f64 v[16:17], v[14:15], v[20:21], -v[16:17]
	s_mov_b32 s15, 0x3f6b998c
	v_add_f64 v[16:17], v[16:17], s[14:15]
	s_mov_b32 s14, 0xaca809cb
	v_fma_f64 v[14:15], v[14:15], v[16:17], -v[20:21]
	s_mov_b32 s15, 0x3fe9be62
	v_add_f64 v[16:17], v[14:15], s[14:15]
	s_mov_b32 s14, 0x652b82fe
	s_mov_b32 s15, 0x3ff71547
	v_mul_f64 v[14:15], v[10:11], s[14:15]
	s_mov_b32 s14, 0xfefa39ef
	v_rndne_f64_e32 v[14:15], v[14:15]
	s_mov_b32 s15, 0xbfe62e42
	v_fma_f64 v[22:23], s[14:15], v[14:15], v[10:11]
	s_mov_b32 s14, 0x3b39803f
	s_mov_b32 s15, 0xbc7abc9e
	v_fmac_f64_e32 v[22:23], s[14:15], v[14:15]
	s_mov_b32 s14, 0x6a5dcb37
	s_mov_b32 s15, 0x3e5ade15
	v_fmac_f64_e32 v[24:25], s[14:15], v[22:23]
	v_mov_b32_e32 v27, 0x3ec71dee
	v_fmac_f64_e32 v[26:27], v[22:23], v[24:25]
	v_mov_b32_e32 v24, 0x7c89e6b0
	v_mov_b32_e32 v25, 0x3efa0199
	v_fmac_f64_e32 v[24:25], v[22:23], v[26:27]
	v_mov_b32_e32 v26, 0x14761f6e
	v_mov_b32_e32 v27, 0x3f2a01a0
	v_fmac_f64_e32 v[26:27], v[22:23], v[24:25]
	v_mov_b32_e32 v24, 0x1852b7b0
	v_mov_b32_e32 v25, 0x3f56c16c
	v_fmac_f64_e32 v[24:25], v[22:23], v[26:27]
	v_mov_b32_e32 v26, 0x11122322
	v_mov_b32_e32 v27, 0x3f811111
	v_fmac_f64_e32 v[26:27], v[22:23], v[24:25]
	v_mov_b32_e32 v24, 0x555502a1
	v_mov_b32_e32 v25, 0x3fa55555
	v_fmac_f64_e32 v[24:25], v[22:23], v[26:27]
	v_mov_b32_e32 v26, 0x55555511
	v_mov_b32_e32 v27, 0x3fc55555
	v_fmac_f64_e32 v[26:27], v[22:23], v[24:25]
	v_mov_b32_e32 v24, 11
	v_mov_b32_e32 v25, 0x3fe00000
	v_fmac_f64_e32 v[24:25], v[22:23], v[26:27]
	s_mov_b32 s14, 0
	v_fma_f64 v[24:25], v[22:23], v[24:25], 1.0
	s_mov_b32 s15, 0x40900000
	v_fma_f64 v[22:23], v[22:23], v[24:25], 1.0
	v_cvt_i32_f64_e32 v14, v[14:15]
	v_cmp_nlt_f64_e32 vcc, s[14:15], v[10:11]
	s_mov_b32 s14, 0
	v_ldexp_f64 v[14:15], v[22:23], v14
	v_mov_b32_e32 v19, 0x7ff00000
	s_brev_b32 s15, 8
	v_cndmask_b32_e32 v15, v19, v15, vcc
	v_cndmask_b32_e32 v14, 0, v14, vcc
	v_cmp_gt_f64_e32 vcc, s[14:15], v[10:11]
	v_cndmask_b32_e64 v19, 0, 1, vcc
	v_lshlrev_b32_e32 v19, 8, v19
	v_ldexp_f64 v[22:23], v[10:11], v19
	v_rsq_f64_e32 v[24:25], v[22:23]
	v_add_f64 v[16:17], v[16:17], -v[20:21]
	v_mov_b32_e32 v19, 0xffffff80
	v_cndmask_b32_e32 v19, 0, v19, vcc
	v_mul_f64 v[20:21], v[22:23], v[24:25]
	v_mul_f64 v[24:25], v[24:25], 0.5
	v_fma_f64 v[26:27], -v[24:25], v[20:21], 0.5
	v_fmac_f64_e32 v[20:21], v[20:21], v[26:27]
	v_fma_f64 v[28:29], -v[20:21], v[20:21], v[22:23]
	v_fmac_f64_e32 v[24:25], v[24:25], v[26:27]
	v_fmac_f64_e32 v[20:21], v[28:29], v[24:25]
	v_fma_f64 v[26:27], -v[20:21], v[20:21], v[22:23]
	v_fmac_f64_e32 v[20:21], v[26:27], v[24:25]
	v_ldexp_f64 v[20:21], v[20:21], v19
	v_mov_b32_e32 v19, 0x260
	v_mul_f64 v[16:17], v[16:17], 0.5
	v_cmp_class_f64_e32 vcc, v[22:23], v19
	v_mul_f64 v[16:17], v[14:15], v[16:17]
	v_cndmask_b32_e32 v21, v21, v23, vcc
	v_cndmask_b32_e32 v20, v20, v22, vcc
	v_div_scale_f64 v[22:23], s[14:15], v[20:21], v[20:21], v[16:17]
	v_rcp_f64_e32 v[24:25], v[22:23]
	v_fma_f64 v[26:27], -v[22:23], v[24:25], 1.0
	v_fmac_f64_e32 v[24:25], v[24:25], v[26:27]
	v_fma_f64 v[26:27], -v[22:23], v[24:25], 1.0
	v_fmac_f64_e32 v[24:25], v[24:25], v[26:27]
	v_div_scale_f64 v[26:27], vcc, v[16:17], v[20:21], v[16:17]
	v_mul_f64 v[28:29], v[26:27], v[24:25]
	v_fma_f64 v[22:23], -v[22:23], v[28:29], v[26:27]
	s_nop 1
	v_div_fmas_f64 v[22:23], v[22:23], v[24:25], v[28:29]
	v_div_fixup_f64 v[16:17], v[22:23], v[20:21], v[16:17]
.LBB1_7:
	s_or_b64 exec, exec, s[12:13]
	s_mov_b32 s12, 0xe6a7fd77
	v_fma_f64 v[20:21], v[10:11], v[10:11], -2.0
	v_mov_b32_e32 v22, 0xc384c2aa
	v_mov_b32_e32 v23, 0x3d27fb0a
	s_mov_b32 s13, 0x3ca3cee1
	v_fmac_f64_e32 v[22:23], s[12:13], v[20:21]
	v_mov_b32_e32 v24, 0xe6a7fd77
	v_mov_b32_e32 v25, 0xbca3cee1
	s_mov_b32 s12, 0x47512144
	v_fmac_f64_e32 v[24:25], v[20:21], v[22:23]
	s_mov_b32 s13, 0x3da6c25c
	v_add_f64 v[24:25], v[24:25], s[12:13]
	s_mov_b32 s12, 0x67e58a13
	v_fma_f64 v[22:23], v[20:21], v[24:25], -v[22:23]
	s_mov_b32 s13, 0x3e205c13
	v_add_f64 v[22:23], v[22:23], s[12:13]
	s_mov_b32 s12, 0xe7f95efc
	v_fma_f64 v[24:25], v[20:21], v[22:23], -v[24:25]
	;; [unrolled: 4-line block ×7, first 2 shown]
	s_mov_b32 s13, 0xbfe12166
	v_add_f64 v[20:21], v[20:21], s[12:13]
	s_mov_b32 s12, 0x55555555
	v_add_f64 v[20:21], v[20:21], -v[22:23]
	v_frexp_mant_f64_e32 v[22:23], v[2:3]
	s_mov_b32 s13, 0x3fe55555
	v_mov_b32_e32 v24, 0x3ff00000
	v_cmp_gt_f64_e32 vcc, s[12:13], v[22:23]
	v_cndmask_b32_e64 v25, v24, 2.0, vcc
	v_mov_b32_e32 v24, 0
	v_mul_f64 v[22:23], v[22:23], v[24:25]
	v_add_f64 v[24:25], v[22:23], 1.0
	v_rcp_f64_e32 v[26:27], v[24:25]
	v_add_f64 v[30:31], v[24:25], -1.0
	v_add_f64 v[28:29], v[22:23], -1.0
	v_add_f64 v[22:23], v[22:23], -v[30:31]
	v_fma_f64 v[30:31], -v[24:25], v[26:27], 1.0
	v_fmac_f64_e32 v[26:27], v[30:31], v[26:27]
	v_fma_f64 v[30:31], -v[24:25], v[26:27], 1.0
	v_fmac_f64_e32 v[26:27], v[30:31], v[26:27]
	v_mul_f64 v[30:31], v[28:29], v[26:27]
	v_mul_f64 v[32:33], v[24:25], v[30:31]
	v_fma_f64 v[24:25], v[30:31], v[24:25], -v[32:33]
	v_fmac_f64_e32 v[24:25], v[30:31], v[22:23]
	v_add_f64 v[22:23], v[32:33], v[24:25]
	v_add_f64 v[34:35], v[28:29], -v[22:23]
	v_add_f64 v[32:33], v[22:23], -v[32:33]
	;; [unrolled: 1-line block ×5, first 2 shown]
	v_add_f64 v[22:23], v[24:25], v[22:23]
	v_add_f64 v[22:23], v[34:35], v[22:23]
	v_mul_f64 v[22:23], v[26:27], v[22:23]
	v_add_f64 v[24:25], v[30:31], v[22:23]
	v_add_f64 v[26:27], v[24:25], -v[30:31]
	s_mov_b32 s12, 0xbf559e2b
	v_add_f64 v[22:23], v[22:23], -v[26:27]
	v_mul_f64 v[26:27], v[24:25], v[24:25]
	v_mov_b32_e32 v28, 0x6b47b09a
	v_mov_b32_e32 v29, 0x3fc38538
	s_mov_b32 s13, 0x3fc3ab76
	v_fmac_f64_e32 v[28:29], s[12:13], v[26:27]
	v_mov_b32_e32 v30, 0xd7f4df2e
	v_mov_b32_e32 v31, 0x3fc7474d
	v_fmac_f64_e32 v[30:31], v[26:27], v[28:29]
	v_mov_b32_e32 v28, 0x16291751
	v_mov_b32_e32 v29, 0x3fcc71c0
	;; [unrolled: 3-line block ×5, first 2 shown]
	v_fmac_f64_e32 v[30:31], v[26:27], v[28:29]
	v_ldexp_f64 v[28:29], v[24:25], 1
	v_mul_f64 v[24:25], v[24:25], v[26:27]
	v_mul_f64 v[24:25], v[24:25], v[30:31]
	v_add_f64 v[26:27], v[28:29], v[24:25]
	v_add_f64 v[28:29], v[26:27], -v[28:29]
	v_ldexp_f64 v[22:23], v[22:23], 1
	v_add_f64 v[24:25], v[24:25], -v[28:29]
	v_add_f64 v[22:23], v[22:23], v[24:25]
	v_frexp_exp_i32_f64_e32 v19, v[2:3]
	v_add_f64 v[24:25], v[26:27], v[22:23]
	v_subbrev_co_u32_e32 v19, vcc, 0, v19, vcc
	v_add_f64 v[26:27], v[24:25], -v[26:27]
	s_mov_b32 s12, 0xfefa39ef
	v_add_f64 v[22:23], v[22:23], -v[26:27]
	v_cvt_f64_i32_e32 v[26:27], v19
	s_mov_b32 s13, 0x3fe62e42
	v_mul_f64 v[28:29], v[26:27], s[12:13]
	v_fma_f64 v[30:31], v[26:27], s[12:13], -v[28:29]
	s_mov_b32 s12, 0x3b39803f
	s_mov_b32 s13, 0x3c7abc9e
	v_fmac_f64_e32 v[30:31], s[12:13], v[26:27]
	v_add_f64 v[26:27], v[28:29], v[30:31]
	v_add_f64 v[28:29], v[26:27], -v[28:29]
	v_add_f64 v[28:29], v[30:31], -v[28:29]
	v_add_f64 v[30:31], v[26:27], v[24:25]
	v_add_f64 v[32:33], v[30:31], -v[26:27]
	v_add_f64 v[34:35], v[30:31], -v[32:33]
	;; [unrolled: 1-line block ×4, first 2 shown]
	v_add_f64 v[24:25], v[24:25], v[26:27]
	v_add_f64 v[26:27], v[28:29], v[22:23]
	v_add_f64 v[32:33], v[26:27], -v[28:29]
	v_add_f64 v[34:35], v[26:27], -v[32:33]
	v_add_f64 v[24:25], v[26:27], v[24:25]
	v_add_f64 v[28:29], v[28:29], -v[34:35]
	v_add_f64 v[22:23], v[22:23], -v[32:33]
	v_add_f64 v[26:27], v[30:31], v[24:25]
	v_add_f64 v[22:23], v[22:23], v[28:29]
	v_add_f64 v[28:29], v[26:27], -v[30:31]
	v_add_f64 v[24:25], v[24:25], -v[28:29]
	s_mov_b32 s12, 0
	v_add_f64 v[22:23], v[22:23], v[24:25]
	s_mov_b32 s13, 0x7ff00000
	v_add_f64 v[22:23], v[26:27], v[22:23]
	v_cmp_eq_f64_e32 vcc, s[12:13], v[2:3]
	v_cndmask_b32_e32 v19, v22, v2, vcc
	v_cndmask_b32_e32 v22, v23, v3, vcc
	v_mov_b32_e32 v23, 0xfff00000
	v_cmp_neq_f64_e32 vcc, 0, v[2:3]
	v_cndmask_b32_e32 v3, v23, v22, vcc
	v_cndmask_b32_e32 v2, 0, v19, vcc
	v_mul_f64 v[2:3], v[2:3], v[16:17]
	v_fma_f64 v[2:3], v[20:21], 0.5, -v[2:3]
	v_mul_f64 v[2:3], v[14:15], v[2:3]
.LBB1_8:
	s_andn2_saveexec_b64 s[10:11], s[10:11]
	s_cbranch_execz .LBB1_10
; %bb.9:
	s_mov_b32 s12, 0
	s_mov_b32 s13, 0x40200000
	v_div_scale_f64 v[2:3], s[14:15], v[10:11], v[10:11], s[12:13]
	v_rcp_f64_e32 v[14:15], v[2:3]
	s_mov_b32 s14, 0
	s_brev_b32 s15, 8
	v_fma_f64 v[16:17], -v[2:3], v[14:15], 1.0
	v_fmac_f64_e32 v[14:15], v[14:15], v[16:17]
	v_fma_f64 v[16:17], -v[2:3], v[14:15], 1.0
	v_fmac_f64_e32 v[14:15], v[14:15], v[16:17]
	v_div_scale_f64 v[16:17], vcc, s[12:13], v[10:11], s[12:13]
	v_mul_f64 v[20:21], v[16:17], v[14:15]
	v_fma_f64 v[2:3], -v[2:3], v[20:21], v[16:17]
	v_mov_b32_e32 v16, 0xcf8c9ee1
	s_nop 0
	v_div_fmas_f64 v[2:3], v[2:3], v[14:15], v[20:21]
	v_div_fixup_f64 v[2:3], v[2:3], v[10:11], s[12:13]
	s_mov_b32 s12, 0xcf8c9ee1
	v_add_f64 v[2:3], v[2:3], -2.0
	v_mov_b32_e32 v14, 0x93812603
	v_mov_b32_e32 v15, 0xbc72fecc
	s_mov_b32 s13, 0x3c5871a5
	v_fmac_f64_e32 v[14:15], s[12:13], v[2:3]
	v_mov_b32_e32 v17, 0xbc5871a5
	s_mov_b32 s12, 0x41a8cdf4
	v_fmac_f64_e32 v[16:17], v[2:3], v[14:15]
	s_mov_b32 s13, 0x3c8e092e
	v_add_f64 v[16:17], v[16:17], s[12:13]
	s_mov_b32 s12, 0x74d77641
	v_fma_f64 v[14:15], v[2:3], v[16:17], -v[14:15]
	s_mov_b32 s13, 0xbca82f94
	v_add_f64 v[14:15], v[14:15], s[12:13]
	s_mov_b32 s12, 0x6b94785b
	v_fma_f64 v[16:17], v[2:3], v[14:15], -v[16:17]
	;; [unrolled: 4-line block ×21, first 2 shown]
	s_mov_b32 s13, 0xbfa019f7
	v_add_f64 v[14:15], v[14:15], s[12:13]
	v_cmp_gt_f64_e32 vcc, s[14:15], v[10:11]
	v_fma_f64 v[2:3], v[2:3], v[14:15], -v[16:17]
	v_cndmask_b32_e64 v14, 0, 1, vcc
	v_lshlrev_b32_e32 v14, 8, v14
	v_ldexp_f64 v[10:11], v[10:11], v14
	v_rsq_f64_e32 v[14:15], v[10:11]
	s_mov_b32 s12, 0x9f4e6907
	s_mov_b32 s13, 0x400385bd
	v_add_f64 v[2:3], v[2:3], s[12:13]
	v_add_f64 v[2:3], v[2:3], -v[16:17]
	v_mul_f64 v[16:17], v[10:11], v[14:15]
	v_mul_f64 v[14:15], v[14:15], 0.5
	v_fma_f64 v[20:21], -v[14:15], v[16:17], 0.5
	v_fmac_f64_e32 v[16:17], v[16:17], v[20:21]
	v_fma_f64 v[22:23], -v[16:17], v[16:17], v[10:11]
	v_fmac_f64_e32 v[14:15], v[14:15], v[20:21]
	v_fmac_f64_e32 v[16:17], v[22:23], v[14:15]
	v_fma_f64 v[20:21], -v[16:17], v[16:17], v[10:11]
	v_fmac_f64_e32 v[16:17], v[20:21], v[14:15]
	v_mov_b32_e32 v14, 0xffffff80
	v_cndmask_b32_e32 v14, 0, v14, vcc
	v_ldexp_f64 v[14:15], v[16:17], v14
	v_mov_b32_e32 v16, 0x260
	v_cmp_class_f64_e32 vcc, v[10:11], v16
	v_mul_f64 v[2:3], v[2:3], 0.5
	v_cndmask_b32_e32 v11, v15, v11, vcc
	v_cndmask_b32_e32 v10, v14, v10, vcc
	v_div_scale_f64 v[14:15], s[12:13], v[10:11], v[10:11], v[2:3]
	v_rcp_f64_e32 v[16:17], v[14:15]
	v_fma_f64 v[20:21], -v[14:15], v[16:17], 1.0
	v_fmac_f64_e32 v[16:17], v[16:17], v[20:21]
	v_fma_f64 v[20:21], -v[14:15], v[16:17], 1.0
	v_fmac_f64_e32 v[16:17], v[16:17], v[20:21]
	v_div_scale_f64 v[20:21], vcc, v[2:3], v[10:11], v[2:3]
	v_mul_f64 v[22:23], v[20:21], v[16:17]
	v_fma_f64 v[14:15], -v[14:15], v[22:23], v[20:21]
	s_nop 1
	v_div_fmas_f64 v[14:15], v[14:15], v[16:17], v[22:23]
	v_div_fixup_f64 v[2:3], v[14:15], v[10:11], v[2:3]
.LBB1_10:
	s_or_b64 exec, exec, s[10:11]
.LBB1_11:
	s_or_b64 exec, exec, s[8:9]
.LBB1_12:
	s_or_b64 exec, exec, s[6:7]
	v_cmp_neq_f64_e32 vcc, 0, v[12:13]
	s_and_saveexec_b64 s[6:7], vcc
	s_cbranch_execz .LBB1_24
; %bb.13:
	v_mov_b32_e32 v4, 0
	v_cmp_ngt_f64_e32 vcc, 0, v[12:13]
	v_mov_b32_e32 v5, 0x7ff80000
	s_and_saveexec_b64 s[8:9], vcc
	s_cbranch_execz .LBB1_23
; %bb.14:
	v_cmp_ge_f64_e32 vcc, 2.0, v[12:13]
	s_and_saveexec_b64 s[10:11], vcc
	s_xor_b64 s[10:11], exec, s[10:11]
	s_cbranch_execz .LBB1_20
; %bb.15:
	s_mov_b32 s12, 0
	s_mov_b32 s13, 0x40200000
	v_mul_f64 v[4:5], v[12:13], 0.5
	v_cmp_ge_f64_e32 vcc, s[12:13], v[12:13]
                                        ; implicit-def: $vgpr14_vgpr15
                                        ; implicit-def: $vgpr10_vgpr11
	s_and_saveexec_b64 s[12:13], vcc
	s_xor_b64 s[12:13], exec, s[12:13]
	s_cbranch_execz .LBB1_17
; %bb.16:
	s_mov_b32 s14, 0x2134d0ef
	v_add_f64 v[10:11], v[4:5], -2.0
	v_mov_b32_e32 v14, 0x977da589
	v_mov_b32_e32 v15, 0x3c833362
	s_mov_b32 s15, 0xbc545cb7
	v_fmac_f64_e32 v[14:15], s[14:15], v[10:11]
	v_mov_b32_e32 v16, 0x2134d0ef
	v_mov_b32_e32 v17, 0x3c545cb7
	s_mov_b32 s14, 0x721ebbb4
	v_fmac_f64_e32 v[16:17], v[10:11], v[14:15]
	s_mov_b32 s15, 0xbcb184eb
	v_add_f64 v[16:17], v[16:17], s[14:15]
	s_mov_b32 s14, 0x93f65eba
	v_fma_f64 v[14:15], v[10:11], v[16:17], -v[14:15]
	s_mov_b32 s15, 0x3cdee6d8
	v_add_f64 v[14:15], v[14:15], s[14:15]
	s_mov_b32 s14, 0xc297fbeb
	v_fma_f64 v[16:17], v[10:11], v[14:15], -v[16:17]
	;; [unrolled: 4-line block ×27, first 2 shown]
	s_mov_b32 s15, 0x3fe5a84e
	v_add_f64 v[16:17], v[10:11], s[14:15]
	s_mov_b32 s14, 0x652b82fe
	s_mov_b32 s15, 0x3ff71547
	v_mul_f64 v[10:11], v[12:13], s[14:15]
	s_mov_b32 s14, 0xfefa39ef
	v_rndne_f64_e32 v[10:11], v[10:11]
	s_mov_b32 s15, 0xbfe62e42
	v_fma_f64 v[20:21], s[14:15], v[10:11], v[12:13]
	s_mov_b32 s14, 0x3b39803f
	s_mov_b32 s15, 0xbc7abc9e
	v_fmac_f64_e32 v[20:21], s[14:15], v[10:11]
	s_mov_b32 s14, 0x6a5dcb37
	v_mov_b32_e32 v22, 0xfca7ab0c
	v_mov_b32_e32 v23, 0x3e928af3
	s_mov_b32 s15, 0x3e5ade15
	v_fmac_f64_e32 v[22:23], s[14:15], v[20:21]
	v_mov_b32_e32 v24, 0x623fde64
	v_mov_b32_e32 v25, 0x3ec71dee
	v_fmac_f64_e32 v[24:25], v[20:21], v[22:23]
	v_mov_b32_e32 v22, 0x7c89e6b0
	v_mov_b32_e32 v23, 0x3efa0199
	;; [unrolled: 3-line block ×8, first 2 shown]
	v_fmac_f64_e32 v[22:23], v[20:21], v[24:25]
	v_fma_f64 v[22:23], v[20:21], v[22:23], 1.0
	s_mov_b32 s14, 0
	v_fma_f64 v[20:21], v[20:21], v[22:23], 1.0
	v_cvt_i32_f64_e32 v10, v[10:11]
	s_mov_b32 s15, 0x40900000
	v_ldexp_f64 v[10:11], v[20:21], v10
	v_mov_b32_e32 v19, 0x7ff00000
	v_cmp_nlt_f64_e32 vcc, s[14:15], v[12:13]
	v_add_f64 v[14:15], v[16:17], -v[14:15]
	v_cndmask_b32_e32 v11, v19, v11, vcc
	v_cndmask_b32_e32 v10, 0, v10, vcc
	v_mul_f64 v[14:15], v[14:15], 0.5
	v_mul_f64 v[14:15], v[10:11], v[14:15]
.LBB1_17:
	s_andn2_saveexec_b64 s[12:13], s[12:13]
	s_cbranch_execz .LBB1_19
; %bb.18:
	s_mov_b32 s14, 0
	s_mov_b32 s15, 0x40400000
	v_div_scale_f64 v[10:11], s[16:17], v[12:13], v[12:13], s[14:15]
	v_rcp_f64_e32 v[14:15], v[10:11]
	v_mov_b32_e32 v22, 0xfca7ab0c
	v_mov_b32_e32 v23, 0x3e928af3
	;; [unrolled: 1-line block ×3, first 2 shown]
	v_fma_f64 v[16:17], -v[10:11], v[14:15], 1.0
	v_fmac_f64_e32 v[14:15], v[14:15], v[16:17]
	v_fma_f64 v[16:17], -v[10:11], v[14:15], 1.0
	v_fmac_f64_e32 v[14:15], v[14:15], v[16:17]
	v_div_scale_f64 v[16:17], vcc, s[14:15], v[12:13], s[14:15]
	v_mul_f64 v[20:21], v[16:17], v[14:15]
	v_fma_f64 v[10:11], -v[10:11], v[20:21], v[16:17]
	v_mov_b32_e32 v16, 0x54ca8b19
	s_nop 0
	v_div_fmas_f64 v[10:11], v[10:11], v[14:15], v[20:21]
	v_div_fixup_f64 v[10:11], v[10:11], v[12:13], s[14:15]
	s_mov_b32 s14, 0x54ca8b19
	v_add_f64 v[10:11], v[10:11], -2.0
	v_mov_b32_e32 v14, 0x66119130
	v_mov_b32_e32 v15, 0xbc5646da
	s_mov_b32 s15, 0xbc60adb7
	v_fmac_f64_e32 v[14:15], s[14:15], v[10:11]
	v_mov_b32_e32 v17, 0x3c60adb7
	s_mov_b32 s14, 0x12d98421
	v_fmac_f64_e32 v[16:17], v[10:11], v[14:15]
	s_mov_b32 s15, 0x3c89be18
	v_add_f64 v[16:17], v[16:17], s[14:15]
	s_mov_b32 s14, 0x76041cd
	v_fma_f64 v[14:15], v[10:11], v[16:17], -v[14:15]
	s_mov_b32 s15, 0x3c83f3dd
	v_add_f64 v[14:15], v[14:15], s[14:15]
	s_mov_b32 s14, 0xabd21fe4
	v_fma_f64 v[16:17], v[10:11], v[14:15], -v[16:17]
	;; [unrolled: 4-line block ×22, first 2 shown]
	s_mov_b32 s15, 0x3fe9be62
	v_add_f64 v[14:15], v[10:11], s[14:15]
	s_mov_b32 s14, 0x652b82fe
	s_mov_b32 s15, 0x3ff71547
	v_mul_f64 v[10:11], v[12:13], s[14:15]
	s_mov_b32 s14, 0xfefa39ef
	v_rndne_f64_e32 v[10:11], v[10:11]
	s_mov_b32 s15, 0xbfe62e42
	v_fma_f64 v[20:21], s[14:15], v[10:11], v[12:13]
	s_mov_b32 s14, 0x3b39803f
	s_mov_b32 s15, 0xbc7abc9e
	v_fmac_f64_e32 v[20:21], s[14:15], v[10:11]
	s_mov_b32 s14, 0x6a5dcb37
	s_mov_b32 s15, 0x3e5ade15
	v_fmac_f64_e32 v[22:23], s[14:15], v[20:21]
	v_mov_b32_e32 v25, 0x3ec71dee
	v_fmac_f64_e32 v[24:25], v[20:21], v[22:23]
	v_mov_b32_e32 v22, 0x7c89e6b0
	v_mov_b32_e32 v23, 0x3efa0199
	v_fmac_f64_e32 v[22:23], v[20:21], v[24:25]
	v_mov_b32_e32 v24, 0x14761f6e
	;; [unrolled: 3-line block ×7, first 2 shown]
	v_mov_b32_e32 v23, 0x3fe00000
	v_fmac_f64_e32 v[22:23], v[20:21], v[24:25]
	s_mov_b32 s14, 0
	v_fma_f64 v[22:23], v[20:21], v[22:23], 1.0
	s_mov_b32 s15, 0x40900000
	v_fma_f64 v[20:21], v[20:21], v[22:23], 1.0
	v_cvt_i32_f64_e32 v10, v[10:11]
	v_cmp_nlt_f64_e32 vcc, s[14:15], v[12:13]
	s_mov_b32 s14, 0
	v_ldexp_f64 v[10:11], v[20:21], v10
	v_mov_b32_e32 v19, 0x7ff00000
	s_brev_b32 s15, 8
	v_cndmask_b32_e32 v11, v19, v11, vcc
	v_cndmask_b32_e32 v10, 0, v10, vcc
	v_cmp_gt_f64_e32 vcc, s[14:15], v[12:13]
	v_cndmask_b32_e64 v19, 0, 1, vcc
	v_lshlrev_b32_e32 v19, 8, v19
	v_ldexp_f64 v[20:21], v[12:13], v19
	v_rsq_f64_e32 v[22:23], v[20:21]
	v_add_f64 v[14:15], v[14:15], -v[16:17]
	v_mov_b32_e32 v19, 0xffffff80
	v_cndmask_b32_e32 v19, 0, v19, vcc
	v_mul_f64 v[16:17], v[20:21], v[22:23]
	v_mul_f64 v[22:23], v[22:23], 0.5
	v_fma_f64 v[24:25], -v[22:23], v[16:17], 0.5
	v_fmac_f64_e32 v[16:17], v[16:17], v[24:25]
	v_fma_f64 v[26:27], -v[16:17], v[16:17], v[20:21]
	v_fmac_f64_e32 v[22:23], v[22:23], v[24:25]
	v_fmac_f64_e32 v[16:17], v[26:27], v[22:23]
	v_fma_f64 v[24:25], -v[16:17], v[16:17], v[20:21]
	v_fmac_f64_e32 v[16:17], v[24:25], v[22:23]
	v_ldexp_f64 v[16:17], v[16:17], v19
	v_mov_b32_e32 v19, 0x260
	v_mul_f64 v[14:15], v[14:15], 0.5
	v_cmp_class_f64_e32 vcc, v[20:21], v19
	v_mul_f64 v[14:15], v[10:11], v[14:15]
	v_cndmask_b32_e32 v17, v17, v21, vcc
	v_cndmask_b32_e32 v16, v16, v20, vcc
	v_div_scale_f64 v[20:21], s[14:15], v[16:17], v[16:17], v[14:15]
	v_rcp_f64_e32 v[22:23], v[20:21]
	v_fma_f64 v[24:25], -v[20:21], v[22:23], 1.0
	v_fmac_f64_e32 v[22:23], v[22:23], v[24:25]
	v_fma_f64 v[24:25], -v[20:21], v[22:23], 1.0
	v_fmac_f64_e32 v[22:23], v[22:23], v[24:25]
	v_div_scale_f64 v[24:25], vcc, v[14:15], v[16:17], v[14:15]
	v_mul_f64 v[26:27], v[24:25], v[22:23]
	v_fma_f64 v[20:21], -v[20:21], v[26:27], v[24:25]
	s_nop 1
	v_div_fmas_f64 v[20:21], v[20:21], v[22:23], v[26:27]
	v_div_fixup_f64 v[14:15], v[20:21], v[16:17], v[14:15]
.LBB1_19:
	s_or_b64 exec, exec, s[12:13]
	s_mov_b32 s12, 0xe6a7fd77
	v_fma_f64 v[12:13], v[12:13], v[12:13], -2.0
	v_mov_b32_e32 v16, 0xc384c2aa
	v_mov_b32_e32 v17, 0x3d27fb0a
	s_mov_b32 s13, 0x3ca3cee1
	v_fmac_f64_e32 v[16:17], s[12:13], v[12:13]
	v_mov_b32_e32 v20, 0xe6a7fd77
	v_mov_b32_e32 v21, 0xbca3cee1
	s_mov_b32 s12, 0x47512144
	v_fmac_f64_e32 v[20:21], v[12:13], v[16:17]
	s_mov_b32 s13, 0x3da6c25c
	v_add_f64 v[20:21], v[20:21], s[12:13]
	s_mov_b32 s12, 0x67e58a13
	v_fma_f64 v[16:17], v[12:13], v[20:21], -v[16:17]
	s_mov_b32 s13, 0x3e205c13
	v_add_f64 v[16:17], v[16:17], s[12:13]
	s_mov_b32 s12, 0xe7f95efc
	v_fma_f64 v[20:21], v[12:13], v[16:17], -v[20:21]
	s_mov_b32 s13, 0x3e9102bc
	v_add_f64 v[20:21], v[20:21], s[12:13]
	s_mov_b32 s12, 0xfe8cfca0
	v_fma_f64 v[16:17], v[12:13], v[20:21], -v[16:17]
	s_mov_b32 s13, 0x3ef7f900
	v_add_f64 v[16:17], v[16:17], s[12:13]
	s_mov_b32 s12, 0x75633d73
	v_fma_f64 v[20:21], v[12:13], v[16:17], -v[20:21]
	s_mov_b32 s13, 0x3f54b82e
	v_add_f64 v[20:21], v[20:21], s[12:13]
	s_mov_b32 s12, 0x554a9085
	v_fma_f64 v[16:17], v[12:13], v[20:21], -v[16:17]
	s_mov_b32 s13, 0x3fa26bf6
	v_add_f64 v[16:17], v[16:17], s[12:13]
	s_mov_b32 s12, 0x81213db9
	v_fma_f64 v[20:21], v[12:13], v[16:17], -v[20:21]
	s_mov_b32 s13, 0x3fd608d8
	v_add_f64 v[20:21], v[20:21], s[12:13]
	s_mov_b32 s12, 0xe9d2f61f
	v_fma_f64 v[12:13], v[12:13], v[20:21], -v[16:17]
	s_mov_b32 s13, 0xbfe12166
	v_add_f64 v[12:13], v[12:13], s[12:13]
	s_mov_b32 s12, 0x55555555
	v_add_f64 v[12:13], v[12:13], -v[16:17]
	v_frexp_mant_f64_e32 v[16:17], v[4:5]
	s_mov_b32 s13, 0x3fe55555
	v_mov_b32_e32 v20, 0x3ff00000
	v_cmp_gt_f64_e32 vcc, s[12:13], v[16:17]
	v_cndmask_b32_e64 v21, v20, 2.0, vcc
	v_mov_b32_e32 v20, 0
	v_mul_f64 v[16:17], v[16:17], v[20:21]
	v_add_f64 v[20:21], v[16:17], 1.0
	v_rcp_f64_e32 v[22:23], v[20:21]
	v_add_f64 v[26:27], v[20:21], -1.0
	v_add_f64 v[24:25], v[16:17], -1.0
	v_add_f64 v[16:17], v[16:17], -v[26:27]
	v_fma_f64 v[26:27], -v[20:21], v[22:23], 1.0
	v_fmac_f64_e32 v[22:23], v[26:27], v[22:23]
	v_fma_f64 v[26:27], -v[20:21], v[22:23], 1.0
	v_fmac_f64_e32 v[22:23], v[26:27], v[22:23]
	v_mul_f64 v[26:27], v[24:25], v[22:23]
	v_mul_f64 v[28:29], v[20:21], v[26:27]
	v_fma_f64 v[20:21], v[26:27], v[20:21], -v[28:29]
	v_fmac_f64_e32 v[20:21], v[26:27], v[16:17]
	v_add_f64 v[16:17], v[28:29], v[20:21]
	v_add_f64 v[30:31], v[24:25], -v[16:17]
	v_add_f64 v[28:29], v[16:17], -v[28:29]
	;; [unrolled: 1-line block ×5, first 2 shown]
	v_add_f64 v[16:17], v[20:21], v[16:17]
	v_add_f64 v[16:17], v[30:31], v[16:17]
	v_mul_f64 v[16:17], v[22:23], v[16:17]
	v_add_f64 v[20:21], v[26:27], v[16:17]
	v_add_f64 v[22:23], v[20:21], -v[26:27]
	s_mov_b32 s12, 0xbf559e2b
	v_add_f64 v[16:17], v[16:17], -v[22:23]
	v_mul_f64 v[22:23], v[20:21], v[20:21]
	v_mov_b32_e32 v24, 0x6b47b09a
	v_mov_b32_e32 v25, 0x3fc38538
	s_mov_b32 s13, 0x3fc3ab76
	v_fmac_f64_e32 v[24:25], s[12:13], v[22:23]
	v_mov_b32_e32 v26, 0xd7f4df2e
	v_mov_b32_e32 v27, 0x3fc7474d
	v_fmac_f64_e32 v[26:27], v[22:23], v[24:25]
	v_mov_b32_e32 v24, 0x16291751
	v_mov_b32_e32 v25, 0x3fcc71c0
	;; [unrolled: 3-line block ×5, first 2 shown]
	v_fmac_f64_e32 v[26:27], v[22:23], v[24:25]
	v_ldexp_f64 v[24:25], v[20:21], 1
	v_mul_f64 v[20:21], v[20:21], v[22:23]
	v_mul_f64 v[20:21], v[20:21], v[26:27]
	v_add_f64 v[22:23], v[24:25], v[20:21]
	v_add_f64 v[24:25], v[22:23], -v[24:25]
	v_ldexp_f64 v[16:17], v[16:17], 1
	v_add_f64 v[20:21], v[20:21], -v[24:25]
	v_add_f64 v[16:17], v[16:17], v[20:21]
	v_frexp_exp_i32_f64_e32 v19, v[4:5]
	v_add_f64 v[20:21], v[22:23], v[16:17]
	v_subbrev_co_u32_e32 v19, vcc, 0, v19, vcc
	v_add_f64 v[22:23], v[20:21], -v[22:23]
	s_mov_b32 s12, 0xfefa39ef
	v_add_f64 v[16:17], v[16:17], -v[22:23]
	v_cvt_f64_i32_e32 v[22:23], v19
	s_mov_b32 s13, 0x3fe62e42
	v_mul_f64 v[24:25], v[22:23], s[12:13]
	v_fma_f64 v[26:27], v[22:23], s[12:13], -v[24:25]
	s_mov_b32 s12, 0x3b39803f
	s_mov_b32 s13, 0x3c7abc9e
	v_fmac_f64_e32 v[26:27], s[12:13], v[22:23]
	v_add_f64 v[22:23], v[24:25], v[26:27]
	v_add_f64 v[24:25], v[22:23], -v[24:25]
	v_add_f64 v[24:25], v[26:27], -v[24:25]
	v_add_f64 v[26:27], v[22:23], v[20:21]
	v_add_f64 v[28:29], v[26:27], -v[22:23]
	v_add_f64 v[30:31], v[26:27], -v[28:29]
	;; [unrolled: 1-line block ×4, first 2 shown]
	v_add_f64 v[20:21], v[20:21], v[22:23]
	v_add_f64 v[22:23], v[24:25], v[16:17]
	v_add_f64 v[28:29], v[22:23], -v[24:25]
	v_add_f64 v[30:31], v[22:23], -v[28:29]
	v_add_f64 v[20:21], v[22:23], v[20:21]
	v_add_f64 v[24:25], v[24:25], -v[30:31]
	v_add_f64 v[16:17], v[16:17], -v[28:29]
	v_add_f64 v[22:23], v[26:27], v[20:21]
	v_add_f64 v[16:17], v[16:17], v[24:25]
	v_add_f64 v[24:25], v[22:23], -v[26:27]
	v_add_f64 v[20:21], v[20:21], -v[24:25]
	s_mov_b32 s12, 0
	v_add_f64 v[16:17], v[16:17], v[20:21]
	s_mov_b32 s13, 0x7ff00000
	v_add_f64 v[16:17], v[22:23], v[16:17]
	v_cmp_eq_f64_e32 vcc, s[12:13], v[4:5]
	v_cndmask_b32_e32 v16, v16, v4, vcc
	v_cndmask_b32_e32 v17, v17, v5, vcc
	v_mov_b32_e32 v19, 0xfff00000
	v_cmp_neq_f64_e32 vcc, 0, v[4:5]
	v_cndmask_b32_e32 v5, v19, v17, vcc
	v_cndmask_b32_e32 v4, 0, v16, vcc
	v_mul_f64 v[4:5], v[4:5], v[14:15]
	v_fma_f64 v[4:5], v[12:13], 0.5, -v[4:5]
	v_mul_f64 v[4:5], v[10:11], v[4:5]
                                        ; implicit-def: $vgpr12_vgpr13
.LBB1_20:
	s_andn2_saveexec_b64 s[10:11], s[10:11]
	s_cbranch_execz .LBB1_22
; %bb.21:
	s_mov_b32 s12, 0
	s_mov_b32 s13, 0x40200000
	v_div_scale_f64 v[4:5], s[14:15], v[12:13], v[12:13], s[12:13]
	v_rcp_f64_e32 v[10:11], v[4:5]
	s_mov_b32 s14, 0
	s_brev_b32 s15, 8
	v_fma_f64 v[14:15], -v[4:5], v[10:11], 1.0
	v_fmac_f64_e32 v[10:11], v[10:11], v[14:15]
	v_fma_f64 v[14:15], -v[4:5], v[10:11], 1.0
	v_fmac_f64_e32 v[10:11], v[10:11], v[14:15]
	v_div_scale_f64 v[14:15], vcc, s[12:13], v[12:13], s[12:13]
	v_mul_f64 v[16:17], v[14:15], v[10:11]
	v_fma_f64 v[4:5], -v[4:5], v[16:17], v[14:15]
	v_mov_b32_e32 v14, 0xcf8c9ee1
	s_nop 0
	v_div_fmas_f64 v[4:5], v[4:5], v[10:11], v[16:17]
	v_div_fixup_f64 v[4:5], v[4:5], v[12:13], s[12:13]
	s_mov_b32 s12, 0xcf8c9ee1
	v_add_f64 v[4:5], v[4:5], -2.0
	v_mov_b32_e32 v10, 0x93812603
	v_mov_b32_e32 v11, 0xbc72fecc
	s_mov_b32 s13, 0x3c5871a5
	v_fmac_f64_e32 v[10:11], s[12:13], v[4:5]
	v_mov_b32_e32 v15, 0xbc5871a5
	s_mov_b32 s12, 0x41a8cdf4
	v_fmac_f64_e32 v[14:15], v[4:5], v[10:11]
	s_mov_b32 s13, 0x3c8e092e
	v_add_f64 v[14:15], v[14:15], s[12:13]
	s_mov_b32 s12, 0x74d77641
	v_fma_f64 v[10:11], v[4:5], v[14:15], -v[10:11]
	s_mov_b32 s13, 0xbca82f94
	v_add_f64 v[10:11], v[10:11], s[12:13]
	s_mov_b32 s12, 0x6b94785b
	v_fma_f64 v[14:15], v[4:5], v[10:11], -v[14:15]
	;; [unrolled: 4-line block ×21, first 2 shown]
	s_mov_b32 s13, 0xbfa019f7
	v_add_f64 v[10:11], v[10:11], s[12:13]
	v_cmp_gt_f64_e32 vcc, s[14:15], v[12:13]
	v_fma_f64 v[4:5], v[4:5], v[10:11], -v[14:15]
	v_cndmask_b32_e64 v10, 0, 1, vcc
	v_lshlrev_b32_e32 v10, 8, v10
	v_ldexp_f64 v[10:11], v[12:13], v10
	v_rsq_f64_e32 v[12:13], v[10:11]
	s_mov_b32 s12, 0x9f4e6907
	s_mov_b32 s13, 0x400385bd
	v_add_f64 v[4:5], v[4:5], s[12:13]
	v_add_f64 v[4:5], v[4:5], -v[14:15]
	v_mul_f64 v[14:15], v[10:11], v[12:13]
	v_mul_f64 v[12:13], v[12:13], 0.5
	v_fma_f64 v[16:17], -v[12:13], v[14:15], 0.5
	v_fmac_f64_e32 v[14:15], v[14:15], v[16:17]
	v_fma_f64 v[20:21], -v[14:15], v[14:15], v[10:11]
	v_fmac_f64_e32 v[12:13], v[12:13], v[16:17]
	v_fmac_f64_e32 v[14:15], v[20:21], v[12:13]
	v_fma_f64 v[16:17], -v[14:15], v[14:15], v[10:11]
	v_fmac_f64_e32 v[14:15], v[16:17], v[12:13]
	v_mov_b32_e32 v12, 0xffffff80
	v_cndmask_b32_e32 v12, 0, v12, vcc
	v_ldexp_f64 v[12:13], v[14:15], v12
	v_mov_b32_e32 v14, 0x260
	v_cmp_class_f64_e32 vcc, v[10:11], v14
	v_mul_f64 v[4:5], v[4:5], 0.5
	v_cndmask_b32_e32 v11, v13, v11, vcc
	v_cndmask_b32_e32 v10, v12, v10, vcc
	v_div_scale_f64 v[12:13], s[12:13], v[10:11], v[10:11], v[4:5]
	v_rcp_f64_e32 v[14:15], v[12:13]
	v_fma_f64 v[16:17], -v[12:13], v[14:15], 1.0
	v_fmac_f64_e32 v[14:15], v[14:15], v[16:17]
	v_fma_f64 v[16:17], -v[12:13], v[14:15], 1.0
	v_fmac_f64_e32 v[14:15], v[14:15], v[16:17]
	v_div_scale_f64 v[16:17], vcc, v[4:5], v[10:11], v[4:5]
	v_mul_f64 v[20:21], v[16:17], v[14:15]
	v_fma_f64 v[12:13], -v[12:13], v[20:21], v[16:17]
	s_nop 1
	v_div_fmas_f64 v[12:13], v[12:13], v[14:15], v[20:21]
	v_div_fixup_f64 v[4:5], v[12:13], v[10:11], v[4:5]
.LBB1_22:
	s_or_b64 exec, exec, s[10:11]
.LBB1_23:
	s_or_b64 exec, exec, s[8:9]
.LBB1_24:
	s_or_b64 exec, exec, s[6:7]
	v_mov_b32_e32 v12, 0
	v_mov_b32_e32 v13, 0x7ff00000
	v_cmp_neq_f64_e32 vcc, 0, v[6:7]
	v_pk_mov_b32 v[10:11], v[12:13], v[12:13] op_sel:[0,1]
	s_and_saveexec_b64 s[6:7], vcc
	s_cbranch_execz .LBB1_36
; %bb.25:
	v_mov_b32_e32 v10, 0
	v_cmp_ngt_f64_e32 vcc, 0, v[6:7]
	v_mov_b32_e32 v11, 0x7ff80000
	s_and_saveexec_b64 s[8:9], vcc
	s_cbranch_execz .LBB1_35
; %bb.26:
	v_cmp_ge_f64_e32 vcc, 2.0, v[6:7]
	s_and_saveexec_b64 s[10:11], vcc
	s_xor_b64 s[10:11], exec, s[10:11]
	s_cbranch_execz .LBB1_32
; %bb.27:
	s_mov_b32 s12, 0
	s_mov_b32 s13, 0x40200000
	v_mul_f64 v[10:11], v[6:7], 0.5
	v_cmp_ge_f64_e32 vcc, s[12:13], v[6:7]
                                        ; implicit-def: $vgpr16_vgpr17
                                        ; implicit-def: $vgpr14_vgpr15
	s_and_saveexec_b64 s[12:13], vcc
	s_xor_b64 s[12:13], exec, s[12:13]
	s_cbranch_execz .LBB1_29
; %bb.28:
	s_mov_b32 s14, 0x2134d0ef
	v_add_f64 v[14:15], v[10:11], -2.0
	v_mov_b32_e32 v16, 0x977da589
	v_mov_b32_e32 v17, 0x3c833362
	s_mov_b32 s15, 0xbc545cb7
	v_fmac_f64_e32 v[16:17], s[14:15], v[14:15]
	v_mov_b32_e32 v20, 0x2134d0ef
	v_mov_b32_e32 v21, 0x3c545cb7
	s_mov_b32 s14, 0x721ebbb4
	v_fmac_f64_e32 v[20:21], v[14:15], v[16:17]
	s_mov_b32 s15, 0xbcb184eb
	v_add_f64 v[20:21], v[20:21], s[14:15]
	s_mov_b32 s14, 0x93f65eba
	v_fma_f64 v[16:17], v[14:15], v[20:21], -v[16:17]
	s_mov_b32 s15, 0x3cdee6d8
	v_add_f64 v[16:17], v[16:17], s[14:15]
	s_mov_b32 s14, 0xc297fbeb
	v_fma_f64 v[20:21], v[14:15], v[16:17], -v[20:21]
	s_mov_b32 s15, 0xbd0a5022
	v_add_f64 v[20:21], v[20:21], s[14:15]
	s_mov_b32 s14, 0x4b262627
	v_fma_f64 v[16:17], v[14:15], v[20:21], -v[16:17]
	s_mov_b32 s15, 0x3d359b46
	v_add_f64 v[16:17], v[16:17], s[14:15]
	s_mov_b32 s14, 0x62ee1af0
	v_fma_f64 v[20:21], v[14:15], v[16:17], -v[20:21]
	s_mov_b32 s15, 0xbd61164c
	v_add_f64 v[20:21], v[20:21], s[14:15]
	s_mov_b32 s14, 0xe19bd324
	v_fma_f64 v[16:17], v[14:15], v[20:21], -v[16:17]
	s_mov_b32 s15, 0x3d89fe2f
	v_add_f64 v[16:17], v[16:17], s[14:15]
	s_mov_b32 s14, 0x7a946abc
	v_fma_f64 v[20:21], v[14:15], v[16:17], -v[20:21]
	s_mov_b32 s15, 0xbdb2fc95
	v_add_f64 v[20:21], v[20:21], s[14:15]
	s_mov_b32 s14, 0xcc743c10
	v_fma_f64 v[16:17], v[14:15], v[20:21], -v[16:17]
	s_mov_b32 s15, 0x3dda98be
	v_add_f64 v[16:17], v[16:17], s[14:15]
	s_mov_b32 s14, 0x13ae9556
	v_fma_f64 v[20:21], v[14:15], v[16:17], -v[20:21]
	s_mov_b32 s15, 0xbe01d4fe
	v_add_f64 v[20:21], v[20:21], s[14:15]
	s_mov_b32 s14, 0xa454cb34
	v_fma_f64 v[16:17], v[14:15], v[20:21], -v[16:17]
	s_mov_b32 s15, 0x3e26d903
	v_add_f64 v[16:17], v[16:17], s[14:15]
	s_mov_b32 s14, 0x8c0b30ab
	v_fma_f64 v[20:21], v[14:15], v[16:17], -v[20:21]
	s_mov_b32 s15, 0xbe4beaf6
	v_add_f64 v[20:21], v[20:21], s[14:15]
	s_mov_b32 s14, 0x9d4d6435
	v_fma_f64 v[16:17], v[14:15], v[20:21], -v[16:17]
	s_mov_b32 s15, 0x3e703b76
	v_add_f64 v[16:17], v[16:17], s[14:15]
	s_mov_b32 s14, 0x8f227f8d
	v_fma_f64 v[20:21], v[14:15], v[16:17], -v[20:21]
	s_mov_b32 s15, 0xbe91ec63
	v_add_f64 v[20:21], v[20:21], s[14:15]
	s_mov_b32 s14, 0x978cf4ac
	v_fma_f64 v[16:17], v[14:15], v[20:21], -v[16:17]
	s_mov_b32 s15, 0x3eb2bf24
	v_add_f64 v[16:17], v[16:17], s[14:15]
	s_mov_b32 s14, 0xcba56427
	v_fma_f64 v[20:21], v[14:15], v[16:17], -v[20:21]
	s_mov_b32 s15, 0xbed2866f
	v_add_f64 v[20:21], v[20:21], s[14:15]
	s_mov_b32 s14, 0xbe9a2859
	v_fma_f64 v[16:17], v[14:15], v[20:21], -v[16:17]
	s_mov_b32 s15, 0x3ef13f58
	v_add_f64 v[16:17], v[16:17], s[14:15]
	s_mov_b32 s14, 0x59c41d5a
	v_fma_f64 v[20:21], v[14:15], v[16:17], -v[20:21]
	s_mov_b32 s15, 0xbf0e2b26
	v_add_f64 v[20:21], v[20:21], s[14:15]
	s_mov_b32 s14, 0x74107cab
	v_fma_f64 v[16:17], v[14:15], v[20:21], -v[16:17]
	s_mov_b32 s15, 0x3f28b51b
	v_add_f64 v[16:17], v[16:17], s[14:15]
	s_mov_b32 s14, 0x1f15eb52
	v_fma_f64 v[20:21], v[14:15], v[16:17], -v[20:21]
	s_mov_b32 s15, 0xbf42e2fd
	v_add_f64 v[20:21], v[20:21], s[14:15]
	s_mov_b32 s14, 0x8a12100e
	v_fma_f64 v[16:17], v[14:15], v[20:21], -v[16:17]
	s_mov_b32 s15, 0x3f5adc75
	v_add_f64 v[16:17], v[16:17], s[14:15]
	s_mov_b32 s14, 0x201aa849
	v_fma_f64 v[20:21], v[14:15], v[16:17], -v[20:21]
	s_mov_b32 s15, 0xbf71b65e
	v_add_f64 v[20:21], v[20:21], s[14:15]
	s_mov_b32 s14, 0xf3dde3dd
	v_fma_f64 v[16:17], v[14:15], v[20:21], -v[16:17]
	s_mov_b32 s15, 0x3f859961
	v_add_f64 v[16:17], v[16:17], s[14:15]
	s_mov_b32 s14, 0xf121b6f0
	v_fma_f64 v[20:21], v[14:15], v[16:17], -v[20:21]
	s_mov_b32 s15, 0xbf984e9e
	v_add_f64 v[20:21], v[20:21], s[14:15]
	s_mov_b32 s14, 0xcea8a32d
	v_fma_f64 v[16:17], v[14:15], v[20:21], -v[16:17]
	s_mov_b32 s15, 0x3fa93e8a
	v_add_f64 v[16:17], v[16:17], s[14:15]
	s_mov_b32 s14, 0x342d06ea
	v_fma_f64 v[20:21], v[14:15], v[16:17], -v[20:21]
	s_mov_b32 s15, 0xbfb84b70
	v_add_f64 v[20:21], v[20:21], s[14:15]
	s_mov_b32 s14, 0x77ac88c0
	v_fma_f64 v[16:17], v[14:15], v[20:21], -v[16:17]
	s_mov_b32 s15, 0x3fc5f7ac
	v_add_f64 v[16:17], v[16:17], s[14:15]
	s_mov_b32 s14, 0xc057cd8d
	v_fma_f64 v[20:21], v[14:15], v[16:17], -v[20:21]
	s_mov_b32 s15, 0xbfd37feb
	v_add_f64 v[20:21], v[20:21], s[14:15]
	s_mov_b32 s14, 0x9035a22a
	v_fma_f64 v[14:15], v[14:15], v[20:21], -v[16:17]
	s_mov_b32 s15, 0x3fe5a84e
	v_add_f64 v[20:21], v[14:15], s[14:15]
	s_mov_b32 s14, 0x652b82fe
	s_mov_b32 s15, 0x3ff71547
	v_mul_f64 v[14:15], v[6:7], s[14:15]
	s_mov_b32 s14, 0xfefa39ef
	v_rndne_f64_e32 v[14:15], v[14:15]
	s_mov_b32 s15, 0xbfe62e42
	v_fma_f64 v[22:23], s[14:15], v[14:15], v[6:7]
	s_mov_b32 s14, 0x3b39803f
	s_mov_b32 s15, 0xbc7abc9e
	v_fmac_f64_e32 v[22:23], s[14:15], v[14:15]
	s_mov_b32 s14, 0x6a5dcb37
	v_mov_b32_e32 v24, 0xfca7ab0c
	v_mov_b32_e32 v25, 0x3e928af3
	s_mov_b32 s15, 0x3e5ade15
	v_fmac_f64_e32 v[24:25], s[14:15], v[22:23]
	v_mov_b32_e32 v26, 0x623fde64
	v_mov_b32_e32 v27, 0x3ec71dee
	v_fmac_f64_e32 v[26:27], v[22:23], v[24:25]
	v_mov_b32_e32 v24, 0x7c89e6b0
	v_mov_b32_e32 v25, 0x3efa0199
	;; [unrolled: 3-line block ×8, first 2 shown]
	v_fmac_f64_e32 v[24:25], v[22:23], v[26:27]
	v_fma_f64 v[24:25], v[22:23], v[24:25], 1.0
	s_mov_b32 s14, 0
	v_fma_f64 v[22:23], v[22:23], v[24:25], 1.0
	v_cvt_i32_f64_e32 v14, v[14:15]
	s_mov_b32 s15, 0x40900000
	v_ldexp_f64 v[14:15], v[22:23], v14
	v_mov_b32_e32 v19, 0x7ff00000
	v_cmp_nlt_f64_e32 vcc, s[14:15], v[6:7]
	v_add_f64 v[16:17], v[20:21], -v[16:17]
	v_cndmask_b32_e32 v15, v19, v15, vcc
	v_cndmask_b32_e32 v14, 0, v14, vcc
	v_mul_f64 v[16:17], v[16:17], 0.5
	v_mul_f64 v[16:17], v[14:15], v[16:17]
.LBB1_29:
	s_andn2_saveexec_b64 s[12:13], s[12:13]
	s_cbranch_execz .LBB1_31
; %bb.30:
	s_mov_b32 s14, 0
	s_mov_b32 s15, 0x40400000
	v_div_scale_f64 v[14:15], s[16:17], v[6:7], v[6:7], s[14:15]
	v_rcp_f64_e32 v[16:17], v[14:15]
	v_mov_b32_e32 v24, 0xfca7ab0c
	v_mov_b32_e32 v25, 0x3e928af3
	;; [unrolled: 1-line block ×3, first 2 shown]
	v_fma_f64 v[20:21], -v[14:15], v[16:17], 1.0
	v_fmac_f64_e32 v[16:17], v[16:17], v[20:21]
	v_fma_f64 v[20:21], -v[14:15], v[16:17], 1.0
	v_fmac_f64_e32 v[16:17], v[16:17], v[20:21]
	v_div_scale_f64 v[20:21], vcc, s[14:15], v[6:7], s[14:15]
	v_mul_f64 v[22:23], v[20:21], v[16:17]
	v_fma_f64 v[14:15], -v[14:15], v[22:23], v[20:21]
	v_mov_b32_e32 v20, 0x54ca8b19
	s_nop 0
	v_div_fmas_f64 v[14:15], v[14:15], v[16:17], v[22:23]
	v_div_fixup_f64 v[14:15], v[14:15], v[6:7], s[14:15]
	s_mov_b32 s14, 0x54ca8b19
	v_add_f64 v[14:15], v[14:15], -2.0
	v_mov_b32_e32 v16, 0x66119130
	v_mov_b32_e32 v17, 0xbc5646da
	s_mov_b32 s15, 0xbc60adb7
	v_fmac_f64_e32 v[16:17], s[14:15], v[14:15]
	v_mov_b32_e32 v21, 0x3c60adb7
	s_mov_b32 s14, 0x12d98421
	v_fmac_f64_e32 v[20:21], v[14:15], v[16:17]
	s_mov_b32 s15, 0x3c89be18
	v_add_f64 v[20:21], v[20:21], s[14:15]
	s_mov_b32 s14, 0x76041cd
	v_fma_f64 v[16:17], v[14:15], v[20:21], -v[16:17]
	s_mov_b32 s15, 0x3c83f3dd
	v_add_f64 v[16:17], v[16:17], s[14:15]
	s_mov_b32 s14, 0xabd21fe4
	v_fma_f64 v[20:21], v[14:15], v[16:17], -v[20:21]
	;; [unrolled: 4-line block ×22, first 2 shown]
	s_mov_b32 s15, 0x3fe9be62
	v_add_f64 v[16:17], v[14:15], s[14:15]
	s_mov_b32 s14, 0x652b82fe
	s_mov_b32 s15, 0x3ff71547
	v_mul_f64 v[14:15], v[6:7], s[14:15]
	s_mov_b32 s14, 0xfefa39ef
	v_rndne_f64_e32 v[14:15], v[14:15]
	s_mov_b32 s15, 0xbfe62e42
	v_fma_f64 v[22:23], s[14:15], v[14:15], v[6:7]
	s_mov_b32 s14, 0x3b39803f
	s_mov_b32 s15, 0xbc7abc9e
	v_fmac_f64_e32 v[22:23], s[14:15], v[14:15]
	s_mov_b32 s14, 0x6a5dcb37
	s_mov_b32 s15, 0x3e5ade15
	v_fmac_f64_e32 v[24:25], s[14:15], v[22:23]
	v_mov_b32_e32 v27, 0x3ec71dee
	v_fmac_f64_e32 v[26:27], v[22:23], v[24:25]
	v_mov_b32_e32 v24, 0x7c89e6b0
	v_mov_b32_e32 v25, 0x3efa0199
	v_fmac_f64_e32 v[24:25], v[22:23], v[26:27]
	v_mov_b32_e32 v26, 0x14761f6e
	;; [unrolled: 3-line block ×7, first 2 shown]
	v_mov_b32_e32 v25, 0x3fe00000
	v_fmac_f64_e32 v[24:25], v[22:23], v[26:27]
	s_mov_b32 s14, 0
	v_fma_f64 v[24:25], v[22:23], v[24:25], 1.0
	s_mov_b32 s15, 0x40900000
	v_fma_f64 v[22:23], v[22:23], v[24:25], 1.0
	v_cvt_i32_f64_e32 v14, v[14:15]
	v_cmp_nlt_f64_e32 vcc, s[14:15], v[6:7]
	s_mov_b32 s14, 0
	v_ldexp_f64 v[14:15], v[22:23], v14
	v_mov_b32_e32 v19, 0x7ff00000
	s_brev_b32 s15, 8
	v_cndmask_b32_e32 v15, v19, v15, vcc
	v_cndmask_b32_e32 v14, 0, v14, vcc
	v_cmp_gt_f64_e32 vcc, s[14:15], v[6:7]
	v_cndmask_b32_e64 v19, 0, 1, vcc
	v_lshlrev_b32_e32 v19, 8, v19
	v_ldexp_f64 v[22:23], v[6:7], v19
	v_rsq_f64_e32 v[24:25], v[22:23]
	v_add_f64 v[16:17], v[16:17], -v[20:21]
	v_mov_b32_e32 v19, 0xffffff80
	v_cndmask_b32_e32 v19, 0, v19, vcc
	v_mul_f64 v[20:21], v[22:23], v[24:25]
	v_mul_f64 v[24:25], v[24:25], 0.5
	v_fma_f64 v[26:27], -v[24:25], v[20:21], 0.5
	v_fmac_f64_e32 v[20:21], v[20:21], v[26:27]
	v_fma_f64 v[28:29], -v[20:21], v[20:21], v[22:23]
	v_fmac_f64_e32 v[24:25], v[24:25], v[26:27]
	v_fmac_f64_e32 v[20:21], v[28:29], v[24:25]
	v_fma_f64 v[26:27], -v[20:21], v[20:21], v[22:23]
	v_fmac_f64_e32 v[20:21], v[26:27], v[24:25]
	v_ldexp_f64 v[20:21], v[20:21], v19
	v_mov_b32_e32 v19, 0x260
	v_mul_f64 v[16:17], v[16:17], 0.5
	v_cmp_class_f64_e32 vcc, v[22:23], v19
	v_mul_f64 v[16:17], v[14:15], v[16:17]
	v_cndmask_b32_e32 v21, v21, v23, vcc
	v_cndmask_b32_e32 v20, v20, v22, vcc
	v_div_scale_f64 v[22:23], s[14:15], v[20:21], v[20:21], v[16:17]
	v_rcp_f64_e32 v[24:25], v[22:23]
	v_fma_f64 v[26:27], -v[22:23], v[24:25], 1.0
	v_fmac_f64_e32 v[24:25], v[24:25], v[26:27]
	v_fma_f64 v[26:27], -v[22:23], v[24:25], 1.0
	v_fmac_f64_e32 v[24:25], v[24:25], v[26:27]
	v_div_scale_f64 v[26:27], vcc, v[16:17], v[20:21], v[16:17]
	v_mul_f64 v[28:29], v[26:27], v[24:25]
	v_fma_f64 v[22:23], -v[22:23], v[28:29], v[26:27]
	s_nop 1
	v_div_fmas_f64 v[22:23], v[22:23], v[24:25], v[28:29]
	v_div_fixup_f64 v[16:17], v[22:23], v[20:21], v[16:17]
.LBB1_31:
	s_or_b64 exec, exec, s[12:13]
	s_mov_b32 s12, 0xe6a7fd77
	v_fma_f64 v[20:21], v[6:7], v[6:7], -2.0
	v_mov_b32_e32 v22, 0xc384c2aa
	v_mov_b32_e32 v23, 0x3d27fb0a
	s_mov_b32 s13, 0x3ca3cee1
	v_fmac_f64_e32 v[22:23], s[12:13], v[20:21]
	v_mov_b32_e32 v24, 0xe6a7fd77
	v_mov_b32_e32 v25, 0xbca3cee1
	s_mov_b32 s12, 0x47512144
	v_fmac_f64_e32 v[24:25], v[20:21], v[22:23]
	s_mov_b32 s13, 0x3da6c25c
	v_add_f64 v[24:25], v[24:25], s[12:13]
	s_mov_b32 s12, 0x67e58a13
	v_fma_f64 v[22:23], v[20:21], v[24:25], -v[22:23]
	s_mov_b32 s13, 0x3e205c13
	v_add_f64 v[22:23], v[22:23], s[12:13]
	s_mov_b32 s12, 0xe7f95efc
	v_fma_f64 v[24:25], v[20:21], v[22:23], -v[24:25]
	;; [unrolled: 4-line block ×7, first 2 shown]
	s_mov_b32 s13, 0xbfe12166
	v_add_f64 v[20:21], v[20:21], s[12:13]
	s_mov_b32 s12, 0x55555555
	v_add_f64 v[20:21], v[20:21], -v[22:23]
	v_frexp_mant_f64_e32 v[22:23], v[10:11]
	s_mov_b32 s13, 0x3fe55555
	v_mov_b32_e32 v24, 0x3ff00000
	v_cmp_gt_f64_e32 vcc, s[12:13], v[22:23]
	v_cndmask_b32_e64 v25, v24, 2.0, vcc
	v_mov_b32_e32 v24, 0
	v_mul_f64 v[22:23], v[22:23], v[24:25]
	v_add_f64 v[24:25], v[22:23], 1.0
	v_rcp_f64_e32 v[26:27], v[24:25]
	v_add_f64 v[30:31], v[24:25], -1.0
	v_add_f64 v[28:29], v[22:23], -1.0
	v_add_f64 v[22:23], v[22:23], -v[30:31]
	v_fma_f64 v[30:31], -v[24:25], v[26:27], 1.0
	v_fmac_f64_e32 v[26:27], v[30:31], v[26:27]
	v_fma_f64 v[30:31], -v[24:25], v[26:27], 1.0
	v_fmac_f64_e32 v[26:27], v[30:31], v[26:27]
	v_mul_f64 v[30:31], v[28:29], v[26:27]
	v_mul_f64 v[32:33], v[24:25], v[30:31]
	v_fma_f64 v[24:25], v[30:31], v[24:25], -v[32:33]
	v_fmac_f64_e32 v[24:25], v[30:31], v[22:23]
	v_add_f64 v[22:23], v[32:33], v[24:25]
	v_add_f64 v[34:35], v[28:29], -v[22:23]
	v_add_f64 v[32:33], v[22:23], -v[32:33]
	;; [unrolled: 1-line block ×5, first 2 shown]
	v_add_f64 v[22:23], v[24:25], v[22:23]
	v_add_f64 v[22:23], v[34:35], v[22:23]
	v_mul_f64 v[22:23], v[26:27], v[22:23]
	v_add_f64 v[24:25], v[30:31], v[22:23]
	v_add_f64 v[26:27], v[24:25], -v[30:31]
	s_mov_b32 s12, 0xbf559e2b
	v_add_f64 v[22:23], v[22:23], -v[26:27]
	v_mul_f64 v[26:27], v[24:25], v[24:25]
	v_mov_b32_e32 v28, 0x6b47b09a
	v_mov_b32_e32 v29, 0x3fc38538
	s_mov_b32 s13, 0x3fc3ab76
	v_fmac_f64_e32 v[28:29], s[12:13], v[26:27]
	v_mov_b32_e32 v30, 0xd7f4df2e
	v_mov_b32_e32 v31, 0x3fc7474d
	v_fmac_f64_e32 v[30:31], v[26:27], v[28:29]
	v_mov_b32_e32 v28, 0x16291751
	v_mov_b32_e32 v29, 0x3fcc71c0
	;; [unrolled: 3-line block ×5, first 2 shown]
	v_fmac_f64_e32 v[30:31], v[26:27], v[28:29]
	v_ldexp_f64 v[28:29], v[24:25], 1
	v_mul_f64 v[24:25], v[24:25], v[26:27]
	v_mul_f64 v[24:25], v[24:25], v[30:31]
	v_add_f64 v[26:27], v[28:29], v[24:25]
	v_add_f64 v[28:29], v[26:27], -v[28:29]
	v_ldexp_f64 v[22:23], v[22:23], 1
	v_add_f64 v[24:25], v[24:25], -v[28:29]
	v_add_f64 v[22:23], v[22:23], v[24:25]
	v_frexp_exp_i32_f64_e32 v19, v[10:11]
	v_add_f64 v[24:25], v[26:27], v[22:23]
	v_subbrev_co_u32_e32 v19, vcc, 0, v19, vcc
	v_add_f64 v[26:27], v[24:25], -v[26:27]
	s_mov_b32 s12, 0xfefa39ef
	v_add_f64 v[22:23], v[22:23], -v[26:27]
	v_cvt_f64_i32_e32 v[26:27], v19
	s_mov_b32 s13, 0x3fe62e42
	v_mul_f64 v[28:29], v[26:27], s[12:13]
	v_fma_f64 v[30:31], v[26:27], s[12:13], -v[28:29]
	s_mov_b32 s12, 0x3b39803f
	s_mov_b32 s13, 0x3c7abc9e
	v_fmac_f64_e32 v[30:31], s[12:13], v[26:27]
	v_add_f64 v[26:27], v[28:29], v[30:31]
	v_add_f64 v[28:29], v[26:27], -v[28:29]
	v_add_f64 v[28:29], v[30:31], -v[28:29]
	v_add_f64 v[30:31], v[26:27], v[24:25]
	v_add_f64 v[32:33], v[30:31], -v[26:27]
	v_add_f64 v[34:35], v[30:31], -v[32:33]
	v_add_f64 v[26:27], v[26:27], -v[34:35]
	v_add_f64 v[24:25], v[24:25], -v[32:33]
	v_add_f64 v[24:25], v[24:25], v[26:27]
	v_add_f64 v[26:27], v[28:29], v[22:23]
	v_add_f64 v[32:33], v[26:27], -v[28:29]
	v_add_f64 v[34:35], v[26:27], -v[32:33]
	v_add_f64 v[24:25], v[26:27], v[24:25]
	v_add_f64 v[28:29], v[28:29], -v[34:35]
	v_add_f64 v[22:23], v[22:23], -v[32:33]
	v_add_f64 v[26:27], v[30:31], v[24:25]
	v_add_f64 v[22:23], v[22:23], v[28:29]
	v_add_f64 v[28:29], v[26:27], -v[30:31]
	v_add_f64 v[24:25], v[24:25], -v[28:29]
	s_mov_b32 s12, 0
	v_add_f64 v[22:23], v[22:23], v[24:25]
	s_mov_b32 s13, 0x7ff00000
	v_add_f64 v[22:23], v[26:27], v[22:23]
	v_cmp_eq_f64_e32 vcc, s[12:13], v[10:11]
	v_cndmask_b32_e32 v19, v22, v10, vcc
	v_cndmask_b32_e32 v22, v23, v11, vcc
	v_mov_b32_e32 v23, 0xfff00000
	v_cmp_neq_f64_e32 vcc, 0, v[10:11]
	v_cndmask_b32_e32 v11, v23, v22, vcc
	v_cndmask_b32_e32 v10, 0, v19, vcc
	v_mul_f64 v[10:11], v[10:11], v[16:17]
	v_fma_f64 v[10:11], v[20:21], 0.5, -v[10:11]
	v_mul_f64 v[10:11], v[14:15], v[10:11]
.LBB1_32:
	s_andn2_saveexec_b64 s[10:11], s[10:11]
	s_cbranch_execz .LBB1_34
; %bb.33:
	s_mov_b32 s12, 0
	s_mov_b32 s13, 0x40200000
	v_div_scale_f64 v[10:11], s[14:15], v[6:7], v[6:7], s[12:13]
	v_rcp_f64_e32 v[14:15], v[10:11]
	s_mov_b32 s14, 0
	s_brev_b32 s15, 8
	v_fma_f64 v[16:17], -v[10:11], v[14:15], 1.0
	v_fmac_f64_e32 v[14:15], v[14:15], v[16:17]
	v_fma_f64 v[16:17], -v[10:11], v[14:15], 1.0
	v_fmac_f64_e32 v[14:15], v[14:15], v[16:17]
	v_div_scale_f64 v[16:17], vcc, s[12:13], v[6:7], s[12:13]
	v_mul_f64 v[20:21], v[16:17], v[14:15]
	v_fma_f64 v[10:11], -v[10:11], v[20:21], v[16:17]
	v_mov_b32_e32 v16, 0xcf8c9ee1
	s_nop 0
	v_div_fmas_f64 v[10:11], v[10:11], v[14:15], v[20:21]
	v_div_fixup_f64 v[10:11], v[10:11], v[6:7], s[12:13]
	s_mov_b32 s12, 0xcf8c9ee1
	v_add_f64 v[10:11], v[10:11], -2.0
	v_mov_b32_e32 v14, 0x93812603
	v_mov_b32_e32 v15, 0xbc72fecc
	s_mov_b32 s13, 0x3c5871a5
	v_fmac_f64_e32 v[14:15], s[12:13], v[10:11]
	v_mov_b32_e32 v17, 0xbc5871a5
	s_mov_b32 s12, 0x41a8cdf4
	v_fmac_f64_e32 v[16:17], v[10:11], v[14:15]
	s_mov_b32 s13, 0x3c8e092e
	v_add_f64 v[16:17], v[16:17], s[12:13]
	s_mov_b32 s12, 0x74d77641
	v_fma_f64 v[14:15], v[10:11], v[16:17], -v[14:15]
	s_mov_b32 s13, 0xbca82f94
	v_add_f64 v[14:15], v[14:15], s[12:13]
	s_mov_b32 s12, 0x6b94785b
	v_fma_f64 v[16:17], v[10:11], v[14:15], -v[16:17]
	s_mov_b32 s13, 0x3cc3dbf9
	v_add_f64 v[16:17], v[16:17], s[12:13]
	s_mov_b32 s12, 0xecfadd36
	v_fma_f64 v[14:15], v[10:11], v[16:17], -v[14:15]
	s_mov_b32 s13, 0xbce0a690
	v_add_f64 v[14:15], v[14:15], s[12:13]
	s_mov_b32 s12, 0x4a7ddc98
	v_fma_f64 v[16:17], v[10:11], v[14:15], -v[16:17]
	s_mov_b32 s13, 0x3cfc8d9c
	v_add_f64 v[16:17], v[16:17], s[12:13]
	s_mov_b32 s12, 0xbb056fc2
	v_fma_f64 v[14:15], v[10:11], v[16:17], -v[14:15]
	s_mov_b32 s13, 0xbd19145e
	v_add_f64 v[14:15], v[14:15], s[12:13]
	s_mov_b32 s12, 0xcd94cfe2
	v_fma_f64 v[16:17], v[10:11], v[14:15], -v[16:17]
	s_mov_b32 s13, 0x3d369c4e
	v_add_f64 v[16:17], v[16:17], s[12:13]
	s_mov_b32 s12, 0x21a470d1
	v_fma_f64 v[14:15], v[10:11], v[16:17], -v[14:15]
	s_mov_b32 s13, 0xbd54f877
	v_add_f64 v[14:15], v[14:15], s[12:13]
	s_mov_b32 s12, 0x2fccfc25
	v_fma_f64 v[16:17], v[10:11], v[14:15], -v[16:17]
	s_mov_b32 s13, 0x3d740fa3
	v_add_f64 v[16:17], v[16:17], s[12:13]
	s_mov_b32 s12, 0x3f005143
	v_fma_f64 v[14:15], v[10:11], v[16:17], -v[14:15]
	s_mov_b32 s13, 0xbd93dafc
	v_add_f64 v[14:15], v[14:15], s[12:13]
	s_mov_b32 s12, 0x475fbcc7
	v_fma_f64 v[16:17], v[10:11], v[14:15], -v[16:17]
	s_mov_b32 s13, 0x3db46808
	v_add_f64 v[16:17], v[16:17], s[12:13]
	s_mov_b32 s12, 0xd2e7c935
	v_fma_f64 v[14:15], v[10:11], v[16:17], -v[14:15]
	s_mov_b32 s13, 0xbdd5df95
	v_add_f64 v[14:15], v[14:15], s[12:13]
	s_mov_b32 s12, 0x819ff608
	v_fma_f64 v[16:17], v[10:11], v[14:15], -v[16:17]
	s_mov_b32 s13, 0x3df8956c
	v_add_f64 v[16:17], v[16:17], s[12:13]
	s_mov_b32 s12, 0xf22bf5db
	v_fma_f64 v[14:15], v[10:11], v[16:17], -v[14:15]
	s_mov_b32 s13, 0xbe1d29d5
	v_add_f64 v[14:15], v[14:15], s[12:13]
	s_mov_b32 s12, 0x33f428e
	v_fma_f64 v[16:17], v[10:11], v[14:15], -v[16:17]
	s_mov_b32 s13, 0x3e4269a0
	v_add_f64 v[16:17], v[16:17], s[12:13]
	s_mov_b32 s12, 0x1b54f2af
	v_fma_f64 v[14:15], v[10:11], v[16:17], -v[14:15]
	s_mov_b32 s13, 0xbe690554
	v_add_f64 v[14:15], v[14:15], s[12:13]
	s_mov_b32 s12, 0x81e3e46f
	v_fma_f64 v[16:17], v[10:11], v[14:15], -v[16:17]
	s_mov_b32 s13, 0x3e929159
	v_add_f64 v[16:17], v[16:17], s[12:13]
	s_mov_b32 s12, 0x7f18d3a9
	v_fma_f64 v[14:15], v[10:11], v[16:17], -v[14:15]
	s_mov_b32 s13, 0xbebebb54
	v_add_f64 v[14:15], v[14:15], s[12:13]
	s_mov_b32 s12, 0xcc7470a9
	v_fma_f64 v[16:17], v[10:11], v[14:15], -v[16:17]
	s_mov_b32 s13, 0x3eed413f
	v_add_f64 v[16:17], v[16:17], s[12:13]
	s_mov_b32 s12, 0xe7889f42
	v_fma_f64 v[14:15], v[10:11], v[16:17], -v[14:15]
	s_mov_b32 s13, 0xbf20d797
	v_add_f64 v[14:15], v[14:15], s[12:13]
	s_mov_b32 s12, 0xfca79342
	v_fma_f64 v[16:17], v[10:11], v[14:15], -v[16:17]
	s_mov_b32 s13, 0x3f59b891
	v_add_f64 v[16:17], v[16:17], s[12:13]
	s_mov_b32 s12, 0x2d4ff71e
	v_fma_f64 v[14:15], v[10:11], v[16:17], -v[14:15]
	s_mov_b32 s13, 0xbfa019f7
	v_add_f64 v[14:15], v[14:15], s[12:13]
	v_cmp_gt_f64_e32 vcc, s[14:15], v[6:7]
	v_fma_f64 v[10:11], v[10:11], v[14:15], -v[16:17]
	v_cndmask_b32_e64 v14, 0, 1, vcc
	v_lshlrev_b32_e32 v14, 8, v14
	v_ldexp_f64 v[6:7], v[6:7], v14
	v_rsq_f64_e32 v[14:15], v[6:7]
	s_mov_b32 s12, 0x9f4e6907
	s_mov_b32 s13, 0x400385bd
	v_add_f64 v[10:11], v[10:11], s[12:13]
	v_add_f64 v[10:11], v[10:11], -v[16:17]
	v_mul_f64 v[16:17], v[6:7], v[14:15]
	v_mul_f64 v[14:15], v[14:15], 0.5
	v_fma_f64 v[20:21], -v[14:15], v[16:17], 0.5
	v_fmac_f64_e32 v[16:17], v[16:17], v[20:21]
	v_fma_f64 v[22:23], -v[16:17], v[16:17], v[6:7]
	v_fmac_f64_e32 v[14:15], v[14:15], v[20:21]
	v_fmac_f64_e32 v[16:17], v[22:23], v[14:15]
	v_fma_f64 v[20:21], -v[16:17], v[16:17], v[6:7]
	v_fmac_f64_e32 v[16:17], v[20:21], v[14:15]
	v_mov_b32_e32 v14, 0xffffff80
	v_cndmask_b32_e32 v14, 0, v14, vcc
	v_ldexp_f64 v[14:15], v[16:17], v14
	v_mov_b32_e32 v16, 0x260
	v_cmp_class_f64_e32 vcc, v[6:7], v16
	v_mul_f64 v[10:11], v[10:11], 0.5
	v_cndmask_b32_e32 v7, v15, v7, vcc
	v_cndmask_b32_e32 v6, v14, v6, vcc
	v_div_scale_f64 v[14:15], s[12:13], v[6:7], v[6:7], v[10:11]
	v_rcp_f64_e32 v[16:17], v[14:15]
	v_fma_f64 v[20:21], -v[14:15], v[16:17], 1.0
	v_fmac_f64_e32 v[16:17], v[16:17], v[20:21]
	v_fma_f64 v[20:21], -v[14:15], v[16:17], 1.0
	v_fmac_f64_e32 v[16:17], v[16:17], v[20:21]
	v_div_scale_f64 v[20:21], vcc, v[10:11], v[6:7], v[10:11]
	v_mul_f64 v[22:23], v[20:21], v[16:17]
	v_fma_f64 v[14:15], -v[14:15], v[22:23], v[20:21]
	s_nop 1
	v_div_fmas_f64 v[14:15], v[14:15], v[16:17], v[22:23]
	v_div_fixup_f64 v[10:11], v[14:15], v[6:7], v[10:11]
.LBB1_34:
	s_or_b64 exec, exec, s[10:11]
.LBB1_35:
	s_or_b64 exec, exec, s[8:9]
.LBB1_36:
	s_or_b64 exec, exec, s[6:7]
	v_cmp_neq_f64_e32 vcc, 0, v[8:9]
	s_and_saveexec_b64 s[6:7], vcc
	s_cbranch_execz .LBB1_48
; %bb.37:
	v_mov_b32_e32 v12, 0
	v_cmp_ngt_f64_e32 vcc, 0, v[8:9]
	v_mov_b32_e32 v13, 0x7ff80000
	s_and_saveexec_b64 s[8:9], vcc
	s_cbranch_execz .LBB1_47
; %bb.38:
	v_cmp_ge_f64_e32 vcc, 2.0, v[8:9]
	s_and_saveexec_b64 s[10:11], vcc
	s_xor_b64 s[10:11], exec, s[10:11]
	s_cbranch_execz .LBB1_44
; %bb.39:
	s_mov_b32 s12, 0
	s_mov_b32 s13, 0x40200000
	v_mul_f64 v[6:7], v[8:9], 0.5
	v_cmp_ge_f64_e32 vcc, s[12:13], v[8:9]
                                        ; implicit-def: $vgpr14_vgpr15
                                        ; implicit-def: $vgpr12_vgpr13
	s_and_saveexec_b64 s[12:13], vcc
	s_xor_b64 s[12:13], exec, s[12:13]
	s_cbranch_execz .LBB1_41
; %bb.40:
	s_mov_b32 s14, 0x2134d0ef
	v_add_f64 v[12:13], v[6:7], -2.0
	v_mov_b32_e32 v14, 0x977da589
	v_mov_b32_e32 v15, 0x3c833362
	s_mov_b32 s15, 0xbc545cb7
	v_fmac_f64_e32 v[14:15], s[14:15], v[12:13]
	v_mov_b32_e32 v16, 0x2134d0ef
	v_mov_b32_e32 v17, 0x3c545cb7
	s_mov_b32 s14, 0x721ebbb4
	v_fmac_f64_e32 v[16:17], v[12:13], v[14:15]
	s_mov_b32 s15, 0xbcb184eb
	v_add_f64 v[16:17], v[16:17], s[14:15]
	s_mov_b32 s14, 0x93f65eba
	v_fma_f64 v[14:15], v[12:13], v[16:17], -v[14:15]
	s_mov_b32 s15, 0x3cdee6d8
	v_add_f64 v[14:15], v[14:15], s[14:15]
	s_mov_b32 s14, 0xc297fbeb
	v_fma_f64 v[16:17], v[12:13], v[14:15], -v[16:17]
	;; [unrolled: 4-line block ×27, first 2 shown]
	s_mov_b32 s15, 0x3fe5a84e
	v_add_f64 v[16:17], v[12:13], s[14:15]
	s_mov_b32 s14, 0x652b82fe
	s_mov_b32 s15, 0x3ff71547
	v_mul_f64 v[12:13], v[8:9], s[14:15]
	s_mov_b32 s14, 0xfefa39ef
	v_rndne_f64_e32 v[12:13], v[12:13]
	s_mov_b32 s15, 0xbfe62e42
	v_fma_f64 v[20:21], s[14:15], v[12:13], v[8:9]
	s_mov_b32 s14, 0x3b39803f
	s_mov_b32 s15, 0xbc7abc9e
	v_fmac_f64_e32 v[20:21], s[14:15], v[12:13]
	s_mov_b32 s14, 0x6a5dcb37
	v_mov_b32_e32 v22, 0xfca7ab0c
	v_mov_b32_e32 v23, 0x3e928af3
	s_mov_b32 s15, 0x3e5ade15
	v_fmac_f64_e32 v[22:23], s[14:15], v[20:21]
	v_mov_b32_e32 v24, 0x623fde64
	v_mov_b32_e32 v25, 0x3ec71dee
	v_fmac_f64_e32 v[24:25], v[20:21], v[22:23]
	v_mov_b32_e32 v22, 0x7c89e6b0
	v_mov_b32_e32 v23, 0x3efa0199
	;; [unrolled: 3-line block ×8, first 2 shown]
	v_fmac_f64_e32 v[22:23], v[20:21], v[24:25]
	v_fma_f64 v[22:23], v[20:21], v[22:23], 1.0
	s_mov_b32 s14, 0
	v_fma_f64 v[20:21], v[20:21], v[22:23], 1.0
	v_cvt_i32_f64_e32 v12, v[12:13]
	s_mov_b32 s15, 0x40900000
	v_ldexp_f64 v[12:13], v[20:21], v12
	v_mov_b32_e32 v19, 0x7ff00000
	v_cmp_nlt_f64_e32 vcc, s[14:15], v[8:9]
	v_add_f64 v[14:15], v[16:17], -v[14:15]
	v_cndmask_b32_e32 v13, v19, v13, vcc
	v_cndmask_b32_e32 v12, 0, v12, vcc
	v_mul_f64 v[14:15], v[14:15], 0.5
	v_mul_f64 v[14:15], v[12:13], v[14:15]
.LBB1_41:
	s_andn2_saveexec_b64 s[12:13], s[12:13]
	s_cbranch_execz .LBB1_43
; %bb.42:
	s_mov_b32 s14, 0
	s_mov_b32 s15, 0x40400000
	v_div_scale_f64 v[12:13], s[16:17], v[8:9], v[8:9], s[14:15]
	v_rcp_f64_e32 v[14:15], v[12:13]
	v_mov_b32_e32 v22, 0xfca7ab0c
	v_mov_b32_e32 v23, 0x3e928af3
	;; [unrolled: 1-line block ×3, first 2 shown]
	v_fma_f64 v[16:17], -v[12:13], v[14:15], 1.0
	v_fmac_f64_e32 v[14:15], v[14:15], v[16:17]
	v_fma_f64 v[16:17], -v[12:13], v[14:15], 1.0
	v_fmac_f64_e32 v[14:15], v[14:15], v[16:17]
	v_div_scale_f64 v[16:17], vcc, s[14:15], v[8:9], s[14:15]
	v_mul_f64 v[20:21], v[16:17], v[14:15]
	v_fma_f64 v[12:13], -v[12:13], v[20:21], v[16:17]
	v_mov_b32_e32 v16, 0x54ca8b19
	s_nop 0
	v_div_fmas_f64 v[12:13], v[12:13], v[14:15], v[20:21]
	v_div_fixup_f64 v[12:13], v[12:13], v[8:9], s[14:15]
	s_mov_b32 s14, 0x54ca8b19
	v_add_f64 v[12:13], v[12:13], -2.0
	v_mov_b32_e32 v14, 0x66119130
	v_mov_b32_e32 v15, 0xbc5646da
	s_mov_b32 s15, 0xbc60adb7
	v_fmac_f64_e32 v[14:15], s[14:15], v[12:13]
	v_mov_b32_e32 v17, 0x3c60adb7
	s_mov_b32 s14, 0x12d98421
	v_fmac_f64_e32 v[16:17], v[12:13], v[14:15]
	s_mov_b32 s15, 0x3c89be18
	v_add_f64 v[16:17], v[16:17], s[14:15]
	s_mov_b32 s14, 0x76041cd
	v_fma_f64 v[14:15], v[12:13], v[16:17], -v[14:15]
	s_mov_b32 s15, 0x3c83f3dd
	v_add_f64 v[14:15], v[14:15], s[14:15]
	s_mov_b32 s14, 0xabd21fe4
	v_fma_f64 v[16:17], v[12:13], v[14:15], -v[16:17]
	;; [unrolled: 4-line block ×22, first 2 shown]
	s_mov_b32 s15, 0x3fe9be62
	v_add_f64 v[14:15], v[12:13], s[14:15]
	s_mov_b32 s14, 0x652b82fe
	s_mov_b32 s15, 0x3ff71547
	v_mul_f64 v[12:13], v[8:9], s[14:15]
	s_mov_b32 s14, 0xfefa39ef
	v_rndne_f64_e32 v[12:13], v[12:13]
	s_mov_b32 s15, 0xbfe62e42
	v_fma_f64 v[20:21], s[14:15], v[12:13], v[8:9]
	s_mov_b32 s14, 0x3b39803f
	s_mov_b32 s15, 0xbc7abc9e
	v_fmac_f64_e32 v[20:21], s[14:15], v[12:13]
	s_mov_b32 s14, 0x6a5dcb37
	s_mov_b32 s15, 0x3e5ade15
	v_fmac_f64_e32 v[22:23], s[14:15], v[20:21]
	v_mov_b32_e32 v25, 0x3ec71dee
	v_fmac_f64_e32 v[24:25], v[20:21], v[22:23]
	v_mov_b32_e32 v22, 0x7c89e6b0
	v_mov_b32_e32 v23, 0x3efa0199
	v_fmac_f64_e32 v[22:23], v[20:21], v[24:25]
	v_mov_b32_e32 v24, 0x14761f6e
	;; [unrolled: 3-line block ×7, first 2 shown]
	v_mov_b32_e32 v23, 0x3fe00000
	v_fmac_f64_e32 v[22:23], v[20:21], v[24:25]
	s_mov_b32 s14, 0
	v_fma_f64 v[22:23], v[20:21], v[22:23], 1.0
	s_mov_b32 s15, 0x40900000
	v_fma_f64 v[20:21], v[20:21], v[22:23], 1.0
	v_cvt_i32_f64_e32 v12, v[12:13]
	v_cmp_nlt_f64_e32 vcc, s[14:15], v[8:9]
	s_mov_b32 s14, 0
	v_ldexp_f64 v[12:13], v[20:21], v12
	v_mov_b32_e32 v19, 0x7ff00000
	s_brev_b32 s15, 8
	v_cndmask_b32_e32 v13, v19, v13, vcc
	v_cndmask_b32_e32 v12, 0, v12, vcc
	v_cmp_gt_f64_e32 vcc, s[14:15], v[8:9]
	v_cndmask_b32_e64 v19, 0, 1, vcc
	v_lshlrev_b32_e32 v19, 8, v19
	v_ldexp_f64 v[20:21], v[8:9], v19
	v_rsq_f64_e32 v[22:23], v[20:21]
	v_add_f64 v[14:15], v[14:15], -v[16:17]
	v_mov_b32_e32 v19, 0xffffff80
	v_cndmask_b32_e32 v19, 0, v19, vcc
	v_mul_f64 v[16:17], v[20:21], v[22:23]
	v_mul_f64 v[22:23], v[22:23], 0.5
	v_fma_f64 v[24:25], -v[22:23], v[16:17], 0.5
	v_fmac_f64_e32 v[16:17], v[16:17], v[24:25]
	v_fma_f64 v[26:27], -v[16:17], v[16:17], v[20:21]
	v_fmac_f64_e32 v[22:23], v[22:23], v[24:25]
	v_fmac_f64_e32 v[16:17], v[26:27], v[22:23]
	v_fma_f64 v[24:25], -v[16:17], v[16:17], v[20:21]
	v_fmac_f64_e32 v[16:17], v[24:25], v[22:23]
	v_ldexp_f64 v[16:17], v[16:17], v19
	v_mov_b32_e32 v19, 0x260
	v_mul_f64 v[14:15], v[14:15], 0.5
	v_cmp_class_f64_e32 vcc, v[20:21], v19
	v_mul_f64 v[14:15], v[12:13], v[14:15]
	v_cndmask_b32_e32 v17, v17, v21, vcc
	v_cndmask_b32_e32 v16, v16, v20, vcc
	v_div_scale_f64 v[20:21], s[14:15], v[16:17], v[16:17], v[14:15]
	v_rcp_f64_e32 v[22:23], v[20:21]
	v_fma_f64 v[24:25], -v[20:21], v[22:23], 1.0
	v_fmac_f64_e32 v[22:23], v[22:23], v[24:25]
	v_fma_f64 v[24:25], -v[20:21], v[22:23], 1.0
	v_fmac_f64_e32 v[22:23], v[22:23], v[24:25]
	v_div_scale_f64 v[24:25], vcc, v[14:15], v[16:17], v[14:15]
	v_mul_f64 v[26:27], v[24:25], v[22:23]
	v_fma_f64 v[20:21], -v[20:21], v[26:27], v[24:25]
	s_nop 1
	v_div_fmas_f64 v[20:21], v[20:21], v[22:23], v[26:27]
	v_div_fixup_f64 v[14:15], v[20:21], v[16:17], v[14:15]
.LBB1_43:
	s_or_b64 exec, exec, s[12:13]
	s_mov_b32 s12, 0xe6a7fd77
	v_fma_f64 v[8:9], v[8:9], v[8:9], -2.0
	v_mov_b32_e32 v16, 0xc384c2aa
	v_mov_b32_e32 v17, 0x3d27fb0a
	s_mov_b32 s13, 0x3ca3cee1
	v_fmac_f64_e32 v[16:17], s[12:13], v[8:9]
	v_mov_b32_e32 v20, 0xe6a7fd77
	v_mov_b32_e32 v21, 0xbca3cee1
	s_mov_b32 s12, 0x47512144
	v_fmac_f64_e32 v[20:21], v[8:9], v[16:17]
	s_mov_b32 s13, 0x3da6c25c
	v_add_f64 v[20:21], v[20:21], s[12:13]
	s_mov_b32 s12, 0x67e58a13
	v_fma_f64 v[16:17], v[8:9], v[20:21], -v[16:17]
	s_mov_b32 s13, 0x3e205c13
	v_add_f64 v[16:17], v[16:17], s[12:13]
	s_mov_b32 s12, 0xe7f95efc
	v_fma_f64 v[20:21], v[8:9], v[16:17], -v[20:21]
	;; [unrolled: 4-line block ×7, first 2 shown]
	s_mov_b32 s13, 0xbfe12166
	v_add_f64 v[8:9], v[8:9], s[12:13]
	s_mov_b32 s12, 0x55555555
	v_add_f64 v[8:9], v[8:9], -v[16:17]
	v_frexp_mant_f64_e32 v[16:17], v[6:7]
	s_mov_b32 s13, 0x3fe55555
	v_mov_b32_e32 v20, 0x3ff00000
	v_cmp_gt_f64_e32 vcc, s[12:13], v[16:17]
	v_cndmask_b32_e64 v21, v20, 2.0, vcc
	v_mov_b32_e32 v20, 0
	v_mul_f64 v[16:17], v[16:17], v[20:21]
	v_add_f64 v[20:21], v[16:17], 1.0
	v_rcp_f64_e32 v[22:23], v[20:21]
	v_add_f64 v[26:27], v[20:21], -1.0
	v_add_f64 v[24:25], v[16:17], -1.0
	v_add_f64 v[16:17], v[16:17], -v[26:27]
	v_fma_f64 v[26:27], -v[20:21], v[22:23], 1.0
	v_fmac_f64_e32 v[22:23], v[26:27], v[22:23]
	v_fma_f64 v[26:27], -v[20:21], v[22:23], 1.0
	v_fmac_f64_e32 v[22:23], v[26:27], v[22:23]
	v_mul_f64 v[26:27], v[24:25], v[22:23]
	v_mul_f64 v[28:29], v[20:21], v[26:27]
	v_fma_f64 v[20:21], v[26:27], v[20:21], -v[28:29]
	v_fmac_f64_e32 v[20:21], v[26:27], v[16:17]
	v_add_f64 v[16:17], v[28:29], v[20:21]
	v_add_f64 v[30:31], v[24:25], -v[16:17]
	v_add_f64 v[28:29], v[16:17], -v[28:29]
	;; [unrolled: 1-line block ×5, first 2 shown]
	v_add_f64 v[16:17], v[20:21], v[16:17]
	v_add_f64 v[16:17], v[30:31], v[16:17]
	v_mul_f64 v[16:17], v[22:23], v[16:17]
	v_add_f64 v[20:21], v[26:27], v[16:17]
	v_add_f64 v[22:23], v[20:21], -v[26:27]
	s_mov_b32 s12, 0xbf559e2b
	v_add_f64 v[16:17], v[16:17], -v[22:23]
	v_mul_f64 v[22:23], v[20:21], v[20:21]
	v_mov_b32_e32 v24, 0x6b47b09a
	v_mov_b32_e32 v25, 0x3fc38538
	s_mov_b32 s13, 0x3fc3ab76
	v_fmac_f64_e32 v[24:25], s[12:13], v[22:23]
	v_mov_b32_e32 v26, 0xd7f4df2e
	v_mov_b32_e32 v27, 0x3fc7474d
	v_fmac_f64_e32 v[26:27], v[22:23], v[24:25]
	v_mov_b32_e32 v24, 0x16291751
	v_mov_b32_e32 v25, 0x3fcc71c0
	;; [unrolled: 3-line block ×5, first 2 shown]
	v_fmac_f64_e32 v[26:27], v[22:23], v[24:25]
	v_ldexp_f64 v[24:25], v[20:21], 1
	v_mul_f64 v[20:21], v[20:21], v[22:23]
	v_mul_f64 v[20:21], v[20:21], v[26:27]
	v_add_f64 v[22:23], v[24:25], v[20:21]
	v_add_f64 v[24:25], v[22:23], -v[24:25]
	v_ldexp_f64 v[16:17], v[16:17], 1
	v_add_f64 v[20:21], v[20:21], -v[24:25]
	v_add_f64 v[16:17], v[16:17], v[20:21]
	v_frexp_exp_i32_f64_e32 v19, v[6:7]
	v_add_f64 v[20:21], v[22:23], v[16:17]
	v_subbrev_co_u32_e32 v19, vcc, 0, v19, vcc
	v_add_f64 v[22:23], v[20:21], -v[22:23]
	s_mov_b32 s12, 0xfefa39ef
	v_add_f64 v[16:17], v[16:17], -v[22:23]
	v_cvt_f64_i32_e32 v[22:23], v19
	s_mov_b32 s13, 0x3fe62e42
	v_mul_f64 v[24:25], v[22:23], s[12:13]
	v_fma_f64 v[26:27], v[22:23], s[12:13], -v[24:25]
	s_mov_b32 s12, 0x3b39803f
	s_mov_b32 s13, 0x3c7abc9e
	v_fmac_f64_e32 v[26:27], s[12:13], v[22:23]
	v_add_f64 v[22:23], v[24:25], v[26:27]
	v_add_f64 v[24:25], v[22:23], -v[24:25]
	v_add_f64 v[24:25], v[26:27], -v[24:25]
	v_add_f64 v[26:27], v[22:23], v[20:21]
	v_add_f64 v[28:29], v[26:27], -v[22:23]
	v_add_f64 v[30:31], v[26:27], -v[28:29]
	;; [unrolled: 1-line block ×4, first 2 shown]
	v_add_f64 v[20:21], v[20:21], v[22:23]
	v_add_f64 v[22:23], v[24:25], v[16:17]
	v_add_f64 v[28:29], v[22:23], -v[24:25]
	v_add_f64 v[30:31], v[22:23], -v[28:29]
	v_add_f64 v[20:21], v[22:23], v[20:21]
	v_add_f64 v[24:25], v[24:25], -v[30:31]
	v_add_f64 v[16:17], v[16:17], -v[28:29]
	v_add_f64 v[22:23], v[26:27], v[20:21]
	v_add_f64 v[16:17], v[16:17], v[24:25]
	v_add_f64 v[24:25], v[22:23], -v[26:27]
	v_add_f64 v[20:21], v[20:21], -v[24:25]
	s_mov_b32 s12, 0
	v_add_f64 v[16:17], v[16:17], v[20:21]
	s_mov_b32 s13, 0x7ff00000
	v_add_f64 v[16:17], v[22:23], v[16:17]
	v_cmp_eq_f64_e32 vcc, s[12:13], v[6:7]
	v_cndmask_b32_e32 v16, v16, v6, vcc
	v_cndmask_b32_e32 v17, v17, v7, vcc
	v_mov_b32_e32 v19, 0xfff00000
	v_cmp_neq_f64_e32 vcc, 0, v[6:7]
	v_cndmask_b32_e32 v7, v19, v17, vcc
	v_cndmask_b32_e32 v6, 0, v16, vcc
	v_mul_f64 v[6:7], v[6:7], v[14:15]
	v_fma_f64 v[6:7], v[8:9], 0.5, -v[6:7]
	v_mul_f64 v[12:13], v[12:13], v[6:7]
                                        ; implicit-def: $vgpr8_vgpr9
.LBB1_44:
	s_andn2_saveexec_b64 s[10:11], s[10:11]
	s_cbranch_execz .LBB1_46
; %bb.45:
	s_mov_b32 s12, 0
	s_mov_b32 s13, 0x40200000
	v_div_scale_f64 v[6:7], s[14:15], v[8:9], v[8:9], s[12:13]
	v_rcp_f64_e32 v[12:13], v[6:7]
	s_mov_b32 s14, 0
	s_brev_b32 s15, 8
	v_fma_f64 v[14:15], -v[6:7], v[12:13], 1.0
	v_fmac_f64_e32 v[12:13], v[12:13], v[14:15]
	v_fma_f64 v[14:15], -v[6:7], v[12:13], 1.0
	v_fmac_f64_e32 v[12:13], v[12:13], v[14:15]
	v_div_scale_f64 v[14:15], vcc, s[12:13], v[8:9], s[12:13]
	v_mul_f64 v[16:17], v[14:15], v[12:13]
	v_fma_f64 v[6:7], -v[6:7], v[16:17], v[14:15]
	v_mov_b32_e32 v14, 0xcf8c9ee1
	s_nop 0
	v_div_fmas_f64 v[6:7], v[6:7], v[12:13], v[16:17]
	v_div_fixup_f64 v[6:7], v[6:7], v[8:9], s[12:13]
	s_mov_b32 s12, 0xcf8c9ee1
	v_add_f64 v[6:7], v[6:7], -2.0
	v_mov_b32_e32 v12, 0x93812603
	v_mov_b32_e32 v13, 0xbc72fecc
	s_mov_b32 s13, 0x3c5871a5
	v_fmac_f64_e32 v[12:13], s[12:13], v[6:7]
	v_mov_b32_e32 v15, 0xbc5871a5
	s_mov_b32 s12, 0x41a8cdf4
	v_fmac_f64_e32 v[14:15], v[6:7], v[12:13]
	s_mov_b32 s13, 0x3c8e092e
	v_add_f64 v[14:15], v[14:15], s[12:13]
	s_mov_b32 s12, 0x74d77641
	v_fma_f64 v[12:13], v[6:7], v[14:15], -v[12:13]
	s_mov_b32 s13, 0xbca82f94
	v_add_f64 v[12:13], v[12:13], s[12:13]
	s_mov_b32 s12, 0x6b94785b
	v_fma_f64 v[14:15], v[6:7], v[12:13], -v[14:15]
	;; [unrolled: 4-line block ×21, first 2 shown]
	s_mov_b32 s13, 0xbfa019f7
	v_add_f64 v[12:13], v[12:13], s[12:13]
	v_cmp_gt_f64_e32 vcc, s[14:15], v[8:9]
	v_fma_f64 v[6:7], v[6:7], v[12:13], -v[14:15]
	v_cndmask_b32_e64 v12, 0, 1, vcc
	v_lshlrev_b32_e32 v12, 8, v12
	v_ldexp_f64 v[8:9], v[8:9], v12
	v_rsq_f64_e32 v[12:13], v[8:9]
	s_mov_b32 s12, 0x9f4e6907
	s_mov_b32 s13, 0x400385bd
	v_add_f64 v[6:7], v[6:7], s[12:13]
	v_add_f64 v[6:7], v[6:7], -v[14:15]
	v_mul_f64 v[14:15], v[8:9], v[12:13]
	v_mul_f64 v[12:13], v[12:13], 0.5
	v_fma_f64 v[16:17], -v[12:13], v[14:15], 0.5
	v_fmac_f64_e32 v[14:15], v[14:15], v[16:17]
	v_fma_f64 v[20:21], -v[14:15], v[14:15], v[8:9]
	v_fmac_f64_e32 v[12:13], v[12:13], v[16:17]
	v_fmac_f64_e32 v[14:15], v[20:21], v[12:13]
	v_fma_f64 v[16:17], -v[14:15], v[14:15], v[8:9]
	v_fmac_f64_e32 v[14:15], v[16:17], v[12:13]
	v_mov_b32_e32 v12, 0xffffff80
	v_cndmask_b32_e32 v12, 0, v12, vcc
	v_ldexp_f64 v[12:13], v[14:15], v12
	v_mov_b32_e32 v14, 0x260
	v_cmp_class_f64_e32 vcc, v[8:9], v14
	v_mul_f64 v[6:7], v[6:7], 0.5
	v_cndmask_b32_e32 v9, v13, v9, vcc
	v_cndmask_b32_e32 v8, v12, v8, vcc
	v_div_scale_f64 v[12:13], s[12:13], v[8:9], v[8:9], v[6:7]
	v_rcp_f64_e32 v[14:15], v[12:13]
	v_fma_f64 v[16:17], -v[12:13], v[14:15], 1.0
	v_fmac_f64_e32 v[14:15], v[14:15], v[16:17]
	v_fma_f64 v[16:17], -v[12:13], v[14:15], 1.0
	v_fmac_f64_e32 v[14:15], v[14:15], v[16:17]
	v_div_scale_f64 v[16:17], vcc, v[6:7], v[8:9], v[6:7]
	v_mul_f64 v[20:21], v[16:17], v[14:15]
	v_fma_f64 v[12:13], -v[12:13], v[20:21], v[16:17]
	s_nop 1
	v_div_fmas_f64 v[12:13], v[12:13], v[14:15], v[20:21]
	v_div_fixup_f64 v[12:13], v[12:13], v[8:9], v[6:7]
.LBB1_46:
	s_or_b64 exec, exec, s[10:11]
.LBB1_47:
	s_or_b64 exec, exec, s[8:9]
.LBB1_48:
	s_or_b64 exec, exec, s[6:7]
	v_mov_b32_e32 v6, s5
	v_add_co_u32_e32 v0, vcc, s4, v0
	v_addc_co_u32_e32 v1, vcc, v1, v6, vcc
	v_add_co_u32_e32 v0, vcc, v0, v18
	v_addc_co_u32_e32 v1, vcc, 0, v1, vcc
	flat_store_dwordx4 v[0:1], v[2:5]
	flat_store_dwordx4 v[0:1], v[10:13] offset:16
	s_waitcnt vmcnt(0) lgkmcnt(0)
	s_setpc_b64 s[30:31]
.Lfunc_end1:
	.size	_ZN2at6native25elementwise_kernel_helperILb0EZZZNS0_12_GLOBAL__N_137scaled_modified_bessel_k0_kernel_cudaERNS_18TensorIteratorBaseEENKUlvE_clEvENKUlvE_clEvEUldE_NS0_6memory8policies10vectorizedILi4ESt5arrayIPcLm2EELi4EEEEEvT0_T1_, .Lfunc_end1-_ZN2at6native25elementwise_kernel_helperILb0EZZZNS0_12_GLOBAL__N_137scaled_modified_bessel_k0_kernel_cudaERNS_18TensorIteratorBaseEENKUlvE_clEvENKUlvE_clEvEUldE_NS0_6memory8policies10vectorizedILi4ESt5arrayIPcLm2EELi4EEEEEvT0_T1_
                                        ; -- End function
	.section	.AMDGPU.csdata,"",@progbits
; Function info:
; codeLenInByte = 20408
; NumSgprs: 36
; NumVgprs: 36
; NumAgprs: 0
; TotalNumVgprs: 36
; ScratchSize: 0
; MemoryBound: 0
	.section	.text._ZN2at6native29vectorized_elementwise_kernelILi16EZZZNS0_12_GLOBAL__N_137scaled_modified_bessel_k0_kernel_cudaERNS_18TensorIteratorBaseEENKUlvE_clEvENKUlvE_clEvEUldE_St5arrayIPcLm2EEEEviT0_T1_,"axG",@progbits,_ZN2at6native29vectorized_elementwise_kernelILi16EZZZNS0_12_GLOBAL__N_137scaled_modified_bessel_k0_kernel_cudaERNS_18TensorIteratorBaseEENKUlvE_clEvENKUlvE_clEvEUldE_St5arrayIPcLm2EEEEviT0_T1_,comdat
	.globl	_ZN2at6native29vectorized_elementwise_kernelILi16EZZZNS0_12_GLOBAL__N_137scaled_modified_bessel_k0_kernel_cudaERNS_18TensorIteratorBaseEENKUlvE_clEvENKUlvE_clEvEUldE_St5arrayIPcLm2EEEEviT0_T1_ ; -- Begin function _ZN2at6native29vectorized_elementwise_kernelILi16EZZZNS0_12_GLOBAL__N_137scaled_modified_bessel_k0_kernel_cudaERNS_18TensorIteratorBaseEENKUlvE_clEvENKUlvE_clEvEUldE_St5arrayIPcLm2EEEEviT0_T1_
	.p2align	8
	.type	_ZN2at6native29vectorized_elementwise_kernelILi16EZZZNS0_12_GLOBAL__N_137scaled_modified_bessel_k0_kernel_cudaERNS_18TensorIteratorBaseEENKUlvE_clEvENKUlvE_clEvEUldE_St5arrayIPcLm2EEEEviT0_T1_,@function
_ZN2at6native29vectorized_elementwise_kernelILi16EZZZNS0_12_GLOBAL__N_137scaled_modified_bessel_k0_kernel_cudaERNS_18TensorIteratorBaseEENKUlvE_clEvENKUlvE_clEvEUldE_St5arrayIPcLm2EEEEviT0_T1_: ; @_ZN2at6native29vectorized_elementwise_kernelILi16EZZZNS0_12_GLOBAL__N_137scaled_modified_bessel_k0_kernel_cudaERNS_18TensorIteratorBaseEENKUlvE_clEvENKUlvE_clEvEUldE_St5arrayIPcLm2EEEEviT0_T1_
; %bb.0:
	s_add_u32 flat_scratch_lo, s6, s9
	s_load_dword s6, s[4:5], 0x0
	s_load_dwordx4 s[20:23], s[4:5], 0x8
	s_addc_u32 flat_scratch_hi, s7, 0
	s_add_u32 s0, s0, s9
	s_addc_u32 s1, s1, 0
	s_lshl_b32 s4, s8, 10
	s_waitcnt lgkmcnt(0)
	s_sub_i32 s19, s6, s4
	s_mov_b32 s18, s8
	v_mov_b32_e32 v36, v0
	s_cmpk_gt_i32 s19, 0x3ff
	s_mov_b64 s[4:5], -1
	s_mov_b32 s32, 0
	s_cbranch_scc1 .LBB2_3
; %bb.1:
	s_andn2_b64 vcc, exec, s[4:5]
	s_cbranch_vccz .LBB2_4
.LBB2_2:
	s_endpgm
.LBB2_3:
	s_mov_b32 s12, s18
	v_mov_b32_e32 v31, v36
	v_mov_b32_e32 v0, s20
	;; [unrolled: 1-line block ×5, first 2 shown]
	s_getpc_b64 s[4:5]
	s_add_u32 s4, s4, _ZN2at6native25elementwise_kernel_helperILb0EZZZNS0_12_GLOBAL__N_137scaled_modified_bessel_k0_kernel_cudaERNS_18TensorIteratorBaseEENKUlvE_clEvENKUlvE_clEvEUldE_NS0_6memory8policies10vectorizedILi4ESt5arrayIPcLm2EELi4EEEEEvT0_T1_@rel32@lo+4
	s_addc_u32 s5, s5, _ZN2at6native25elementwise_kernel_helperILb0EZZZNS0_12_GLOBAL__N_137scaled_modified_bessel_k0_kernel_cudaERNS_18TensorIteratorBaseEENKUlvE_clEvENKUlvE_clEvEUldE_NS0_6memory8policies10vectorizedILi4ESt5arrayIPcLm2EELi4EEEEEvT0_T1_@rel32@hi+12
	s_swappc_b64 s[30:31], s[4:5]
	s_cbranch_execnz .LBB2_2
.LBB2_4:
	s_mov_b32 s12, s18
	v_mov_b32_e32 v31, v36
	v_mov_b32_e32 v0, s20
	;; [unrolled: 1-line block ×6, first 2 shown]
	s_getpc_b64 s[4:5]
	s_add_u32 s4, s4, _ZN2at6native25elementwise_kernel_helperILb0EZZZNS0_12_GLOBAL__N_137scaled_modified_bessel_k0_kernel_cudaERNS_18TensorIteratorBaseEENKUlvE_clEvENKUlvE_clEvEUldE_NS0_6memory8policies11unroll_baseILi256ESt5arrayIPcLm2EE23TrivialOffsetCalculatorILi1EjESF_NS8_15LoadWithoutCastENS8_16StoreWithoutCastELi4ELi1EEEEEvT0_T1_@rel32@lo+4
	s_addc_u32 s5, s5, _ZN2at6native25elementwise_kernel_helperILb0EZZZNS0_12_GLOBAL__N_137scaled_modified_bessel_k0_kernel_cudaERNS_18TensorIteratorBaseEENKUlvE_clEvENKUlvE_clEvEUldE_NS0_6memory8policies11unroll_baseILi256ESt5arrayIPcLm2EE23TrivialOffsetCalculatorILi1EjESF_NS8_15LoadWithoutCastENS8_16StoreWithoutCastELi4ELi1EEEEEvT0_T1_@rel32@hi+12
	s_swappc_b64 s[30:31], s[4:5]
	s_endpgm
	.section	.rodata,"a",@progbits
	.p2align	6, 0x0
	.amdhsa_kernel _ZN2at6native29vectorized_elementwise_kernelILi16EZZZNS0_12_GLOBAL__N_137scaled_modified_bessel_k0_kernel_cudaERNS_18TensorIteratorBaseEENKUlvE_clEvENKUlvE_clEvEUldE_St5arrayIPcLm2EEEEviT0_T1_
		.amdhsa_group_segment_fixed_size 0
		.amdhsa_private_segment_fixed_size 0
		.amdhsa_kernarg_size 24
		.amdhsa_user_sgpr_count 8
		.amdhsa_user_sgpr_private_segment_buffer 1
		.amdhsa_user_sgpr_dispatch_ptr 0
		.amdhsa_user_sgpr_queue_ptr 0
		.amdhsa_user_sgpr_kernarg_segment_ptr 1
		.amdhsa_user_sgpr_dispatch_id 0
		.amdhsa_user_sgpr_flat_scratch_init 1
		.amdhsa_user_sgpr_kernarg_preload_length 0
		.amdhsa_user_sgpr_kernarg_preload_offset 0
		.amdhsa_user_sgpr_private_segment_size 0
		.amdhsa_uses_dynamic_stack 0
		.amdhsa_system_sgpr_private_segment_wavefront_offset 0
		.amdhsa_system_sgpr_workgroup_id_x 1
		.amdhsa_system_sgpr_workgroup_id_y 0
		.amdhsa_system_sgpr_workgroup_id_z 0
		.amdhsa_system_sgpr_workgroup_info 0
		.amdhsa_system_vgpr_workitem_id 0
		.amdhsa_next_free_vgpr 40
		.amdhsa_next_free_sgpr 33
		.amdhsa_accum_offset 40
		.amdhsa_reserve_vcc 1
		.amdhsa_reserve_flat_scratch 1
		.amdhsa_float_round_mode_32 0
		.amdhsa_float_round_mode_16_64 0
		.amdhsa_float_denorm_mode_32 3
		.amdhsa_float_denorm_mode_16_64 3
		.amdhsa_dx10_clamp 1
		.amdhsa_ieee_mode 1
		.amdhsa_fp16_overflow 0
		.amdhsa_tg_split 0
		.amdhsa_exception_fp_ieee_invalid_op 0
		.amdhsa_exception_fp_denorm_src 0
		.amdhsa_exception_fp_ieee_div_zero 0
		.amdhsa_exception_fp_ieee_overflow 0
		.amdhsa_exception_fp_ieee_underflow 0
		.amdhsa_exception_fp_ieee_inexact 0
		.amdhsa_exception_int_div_zero 0
	.end_amdhsa_kernel
	.section	.text._ZN2at6native29vectorized_elementwise_kernelILi16EZZZNS0_12_GLOBAL__N_137scaled_modified_bessel_k0_kernel_cudaERNS_18TensorIteratorBaseEENKUlvE_clEvENKUlvE_clEvEUldE_St5arrayIPcLm2EEEEviT0_T1_,"axG",@progbits,_ZN2at6native29vectorized_elementwise_kernelILi16EZZZNS0_12_GLOBAL__N_137scaled_modified_bessel_k0_kernel_cudaERNS_18TensorIteratorBaseEENKUlvE_clEvENKUlvE_clEvEUldE_St5arrayIPcLm2EEEEviT0_T1_,comdat
.Lfunc_end2:
	.size	_ZN2at6native29vectorized_elementwise_kernelILi16EZZZNS0_12_GLOBAL__N_137scaled_modified_bessel_k0_kernel_cudaERNS_18TensorIteratorBaseEENKUlvE_clEvENKUlvE_clEvEUldE_St5arrayIPcLm2EEEEviT0_T1_, .Lfunc_end2-_ZN2at6native29vectorized_elementwise_kernelILi16EZZZNS0_12_GLOBAL__N_137scaled_modified_bessel_k0_kernel_cudaERNS_18TensorIteratorBaseEENKUlvE_clEvENKUlvE_clEvEUldE_St5arrayIPcLm2EEEEviT0_T1_
                                        ; -- End function
	.section	.AMDGPU.csdata,"",@progbits
; Kernel info:
; codeLenInByte = 188
; NumSgprs: 39
; NumVgprs: 40
; NumAgprs: 0
; TotalNumVgprs: 40
; ScratchSize: 0
; MemoryBound: 0
; FloatMode: 240
; IeeeMode: 1
; LDSByteSize: 0 bytes/workgroup (compile time only)
; SGPRBlocks: 4
; VGPRBlocks: 4
; NumSGPRsForWavesPerEU: 39
; NumVGPRsForWavesPerEU: 40
; AccumOffset: 40
; Occupancy: 8
; WaveLimiterHint : 0
; COMPUTE_PGM_RSRC2:SCRATCH_EN: 0
; COMPUTE_PGM_RSRC2:USER_SGPR: 8
; COMPUTE_PGM_RSRC2:TRAP_HANDLER: 0
; COMPUTE_PGM_RSRC2:TGID_X_EN: 1
; COMPUTE_PGM_RSRC2:TGID_Y_EN: 0
; COMPUTE_PGM_RSRC2:TGID_Z_EN: 0
; COMPUTE_PGM_RSRC2:TIDIG_COMP_CNT: 0
; COMPUTE_PGM_RSRC3_GFX90A:ACCUM_OFFSET: 9
; COMPUTE_PGM_RSRC3_GFX90A:TG_SPLIT: 0
	.section	.text._ZN2at6native29vectorized_elementwise_kernelILi8EZZZNS0_12_GLOBAL__N_137scaled_modified_bessel_k0_kernel_cudaERNS_18TensorIteratorBaseEENKUlvE_clEvENKUlvE_clEvEUldE_St5arrayIPcLm2EEEEviT0_T1_,"axG",@progbits,_ZN2at6native29vectorized_elementwise_kernelILi8EZZZNS0_12_GLOBAL__N_137scaled_modified_bessel_k0_kernel_cudaERNS_18TensorIteratorBaseEENKUlvE_clEvENKUlvE_clEvEUldE_St5arrayIPcLm2EEEEviT0_T1_,comdat
	.globl	_ZN2at6native29vectorized_elementwise_kernelILi8EZZZNS0_12_GLOBAL__N_137scaled_modified_bessel_k0_kernel_cudaERNS_18TensorIteratorBaseEENKUlvE_clEvENKUlvE_clEvEUldE_St5arrayIPcLm2EEEEviT0_T1_ ; -- Begin function _ZN2at6native29vectorized_elementwise_kernelILi8EZZZNS0_12_GLOBAL__N_137scaled_modified_bessel_k0_kernel_cudaERNS_18TensorIteratorBaseEENKUlvE_clEvENKUlvE_clEvEUldE_St5arrayIPcLm2EEEEviT0_T1_
	.p2align	8
	.type	_ZN2at6native29vectorized_elementwise_kernelILi8EZZZNS0_12_GLOBAL__N_137scaled_modified_bessel_k0_kernel_cudaERNS_18TensorIteratorBaseEENKUlvE_clEvENKUlvE_clEvEUldE_St5arrayIPcLm2EEEEviT0_T1_,@function
_ZN2at6native29vectorized_elementwise_kernelILi8EZZZNS0_12_GLOBAL__N_137scaled_modified_bessel_k0_kernel_cudaERNS_18TensorIteratorBaseEENKUlvE_clEvENKUlvE_clEvEUldE_St5arrayIPcLm2EEEEviT0_T1_: ; @_ZN2at6native29vectorized_elementwise_kernelILi8EZZZNS0_12_GLOBAL__N_137scaled_modified_bessel_k0_kernel_cudaERNS_18TensorIteratorBaseEENKUlvE_clEvENKUlvE_clEvEUldE_St5arrayIPcLm2EEEEviT0_T1_
; %bb.0:
	s_add_u32 flat_scratch_lo, s6, s9
	s_load_dword s6, s[4:5], 0x0
	s_load_dwordx4 s[20:23], s[4:5], 0x8
	s_addc_u32 flat_scratch_hi, s7, 0
	s_add_u32 s0, s0, s9
	s_addc_u32 s1, s1, 0
	s_lshl_b32 s4, s8, 10
	s_waitcnt lgkmcnt(0)
	s_sub_i32 s19, s6, s4
	s_mov_b32 s18, s8
	v_mov_b32_e32 v36, v0
	s_cmpk_gt_i32 s19, 0x3ff
	s_mov_b64 s[4:5], -1
	s_mov_b32 s32, 0
	s_cbranch_scc1 .LBB3_3
; %bb.1:
	s_andn2_b64 vcc, exec, s[4:5]
	s_cbranch_vccz .LBB3_4
.LBB3_2:
	s_endpgm
.LBB3_3:
	s_mov_b32 s12, s18
	v_mov_b32_e32 v31, v36
	v_mov_b32_e32 v0, s20
	;; [unrolled: 1-line block ×5, first 2 shown]
	s_getpc_b64 s[4:5]
	s_add_u32 s4, s4, _ZN2at6native25elementwise_kernel_helperILb0EZZZNS0_12_GLOBAL__N_137scaled_modified_bessel_k0_kernel_cudaERNS_18TensorIteratorBaseEENKUlvE_clEvENKUlvE_clEvEUldE_NS0_6memory8policies10vectorizedILi4ESt5arrayIPcLm2EELi4EEEEEvT0_T1_@rel32@lo+4
	s_addc_u32 s5, s5, _ZN2at6native25elementwise_kernel_helperILb0EZZZNS0_12_GLOBAL__N_137scaled_modified_bessel_k0_kernel_cudaERNS_18TensorIteratorBaseEENKUlvE_clEvENKUlvE_clEvEUldE_NS0_6memory8policies10vectorizedILi4ESt5arrayIPcLm2EELi4EEEEEvT0_T1_@rel32@hi+12
	s_swappc_b64 s[30:31], s[4:5]
	s_cbranch_execnz .LBB3_2
.LBB3_4:
	s_mov_b32 s12, s18
	v_mov_b32_e32 v31, v36
	v_mov_b32_e32 v0, s20
	;; [unrolled: 1-line block ×6, first 2 shown]
	s_getpc_b64 s[4:5]
	s_add_u32 s4, s4, _ZN2at6native25elementwise_kernel_helperILb0EZZZNS0_12_GLOBAL__N_137scaled_modified_bessel_k0_kernel_cudaERNS_18TensorIteratorBaseEENKUlvE_clEvENKUlvE_clEvEUldE_NS0_6memory8policies11unroll_baseILi256ESt5arrayIPcLm2EE23TrivialOffsetCalculatorILi1EjESF_NS8_15LoadWithoutCastENS8_16StoreWithoutCastELi4ELi1EEEEEvT0_T1_@rel32@lo+4
	s_addc_u32 s5, s5, _ZN2at6native25elementwise_kernel_helperILb0EZZZNS0_12_GLOBAL__N_137scaled_modified_bessel_k0_kernel_cudaERNS_18TensorIteratorBaseEENKUlvE_clEvENKUlvE_clEvEUldE_NS0_6memory8policies11unroll_baseILi256ESt5arrayIPcLm2EE23TrivialOffsetCalculatorILi1EjESF_NS8_15LoadWithoutCastENS8_16StoreWithoutCastELi4ELi1EEEEEvT0_T1_@rel32@hi+12
	s_swappc_b64 s[30:31], s[4:5]
	s_endpgm
	.section	.rodata,"a",@progbits
	.p2align	6, 0x0
	.amdhsa_kernel _ZN2at6native29vectorized_elementwise_kernelILi8EZZZNS0_12_GLOBAL__N_137scaled_modified_bessel_k0_kernel_cudaERNS_18TensorIteratorBaseEENKUlvE_clEvENKUlvE_clEvEUldE_St5arrayIPcLm2EEEEviT0_T1_
		.amdhsa_group_segment_fixed_size 0
		.amdhsa_private_segment_fixed_size 0
		.amdhsa_kernarg_size 24
		.amdhsa_user_sgpr_count 8
		.amdhsa_user_sgpr_private_segment_buffer 1
		.amdhsa_user_sgpr_dispatch_ptr 0
		.amdhsa_user_sgpr_queue_ptr 0
		.amdhsa_user_sgpr_kernarg_segment_ptr 1
		.amdhsa_user_sgpr_dispatch_id 0
		.amdhsa_user_sgpr_flat_scratch_init 1
		.amdhsa_user_sgpr_kernarg_preload_length 0
		.amdhsa_user_sgpr_kernarg_preload_offset 0
		.amdhsa_user_sgpr_private_segment_size 0
		.amdhsa_uses_dynamic_stack 0
		.amdhsa_system_sgpr_private_segment_wavefront_offset 0
		.amdhsa_system_sgpr_workgroup_id_x 1
		.amdhsa_system_sgpr_workgroup_id_y 0
		.amdhsa_system_sgpr_workgroup_id_z 0
		.amdhsa_system_sgpr_workgroup_info 0
		.amdhsa_system_vgpr_workitem_id 0
		.amdhsa_next_free_vgpr 40
		.amdhsa_next_free_sgpr 33
		.amdhsa_accum_offset 40
		.amdhsa_reserve_vcc 1
		.amdhsa_reserve_flat_scratch 1
		.amdhsa_float_round_mode_32 0
		.amdhsa_float_round_mode_16_64 0
		.amdhsa_float_denorm_mode_32 3
		.amdhsa_float_denorm_mode_16_64 3
		.amdhsa_dx10_clamp 1
		.amdhsa_ieee_mode 1
		.amdhsa_fp16_overflow 0
		.amdhsa_tg_split 0
		.amdhsa_exception_fp_ieee_invalid_op 0
		.amdhsa_exception_fp_denorm_src 0
		.amdhsa_exception_fp_ieee_div_zero 0
		.amdhsa_exception_fp_ieee_overflow 0
		.amdhsa_exception_fp_ieee_underflow 0
		.amdhsa_exception_fp_ieee_inexact 0
		.amdhsa_exception_int_div_zero 0
	.end_amdhsa_kernel
	.section	.text._ZN2at6native29vectorized_elementwise_kernelILi8EZZZNS0_12_GLOBAL__N_137scaled_modified_bessel_k0_kernel_cudaERNS_18TensorIteratorBaseEENKUlvE_clEvENKUlvE_clEvEUldE_St5arrayIPcLm2EEEEviT0_T1_,"axG",@progbits,_ZN2at6native29vectorized_elementwise_kernelILi8EZZZNS0_12_GLOBAL__N_137scaled_modified_bessel_k0_kernel_cudaERNS_18TensorIteratorBaseEENKUlvE_clEvENKUlvE_clEvEUldE_St5arrayIPcLm2EEEEviT0_T1_,comdat
.Lfunc_end3:
	.size	_ZN2at6native29vectorized_elementwise_kernelILi8EZZZNS0_12_GLOBAL__N_137scaled_modified_bessel_k0_kernel_cudaERNS_18TensorIteratorBaseEENKUlvE_clEvENKUlvE_clEvEUldE_St5arrayIPcLm2EEEEviT0_T1_, .Lfunc_end3-_ZN2at6native29vectorized_elementwise_kernelILi8EZZZNS0_12_GLOBAL__N_137scaled_modified_bessel_k0_kernel_cudaERNS_18TensorIteratorBaseEENKUlvE_clEvENKUlvE_clEvEUldE_St5arrayIPcLm2EEEEviT0_T1_
                                        ; -- End function
	.section	.AMDGPU.csdata,"",@progbits
; Kernel info:
; codeLenInByte = 188
; NumSgprs: 39
; NumVgprs: 40
; NumAgprs: 0
; TotalNumVgprs: 40
; ScratchSize: 0
; MemoryBound: 0
; FloatMode: 240
; IeeeMode: 1
; LDSByteSize: 0 bytes/workgroup (compile time only)
; SGPRBlocks: 4
; VGPRBlocks: 4
; NumSGPRsForWavesPerEU: 39
; NumVGPRsForWavesPerEU: 40
; AccumOffset: 40
; Occupancy: 8
; WaveLimiterHint : 0
; COMPUTE_PGM_RSRC2:SCRATCH_EN: 0
; COMPUTE_PGM_RSRC2:USER_SGPR: 8
; COMPUTE_PGM_RSRC2:TRAP_HANDLER: 0
; COMPUTE_PGM_RSRC2:TGID_X_EN: 1
; COMPUTE_PGM_RSRC2:TGID_Y_EN: 0
; COMPUTE_PGM_RSRC2:TGID_Z_EN: 0
; COMPUTE_PGM_RSRC2:TIDIG_COMP_CNT: 0
; COMPUTE_PGM_RSRC3_GFX90A:ACCUM_OFFSET: 9
; COMPUTE_PGM_RSRC3_GFX90A:TG_SPLIT: 0
	.section	.text._ZN2at6native29vectorized_elementwise_kernelILi4EZZZNS0_12_GLOBAL__N_137scaled_modified_bessel_k0_kernel_cudaERNS_18TensorIteratorBaseEENKUlvE_clEvENKUlvE_clEvEUldE_St5arrayIPcLm2EEEEviT0_T1_,"axG",@progbits,_ZN2at6native29vectorized_elementwise_kernelILi4EZZZNS0_12_GLOBAL__N_137scaled_modified_bessel_k0_kernel_cudaERNS_18TensorIteratorBaseEENKUlvE_clEvENKUlvE_clEvEUldE_St5arrayIPcLm2EEEEviT0_T1_,comdat
	.globl	_ZN2at6native29vectorized_elementwise_kernelILi4EZZZNS0_12_GLOBAL__N_137scaled_modified_bessel_k0_kernel_cudaERNS_18TensorIteratorBaseEENKUlvE_clEvENKUlvE_clEvEUldE_St5arrayIPcLm2EEEEviT0_T1_ ; -- Begin function _ZN2at6native29vectorized_elementwise_kernelILi4EZZZNS0_12_GLOBAL__N_137scaled_modified_bessel_k0_kernel_cudaERNS_18TensorIteratorBaseEENKUlvE_clEvENKUlvE_clEvEUldE_St5arrayIPcLm2EEEEviT0_T1_
	.p2align	8
	.type	_ZN2at6native29vectorized_elementwise_kernelILi4EZZZNS0_12_GLOBAL__N_137scaled_modified_bessel_k0_kernel_cudaERNS_18TensorIteratorBaseEENKUlvE_clEvENKUlvE_clEvEUldE_St5arrayIPcLm2EEEEviT0_T1_,@function
_ZN2at6native29vectorized_elementwise_kernelILi4EZZZNS0_12_GLOBAL__N_137scaled_modified_bessel_k0_kernel_cudaERNS_18TensorIteratorBaseEENKUlvE_clEvENKUlvE_clEvEUldE_St5arrayIPcLm2EEEEviT0_T1_: ; @_ZN2at6native29vectorized_elementwise_kernelILi4EZZZNS0_12_GLOBAL__N_137scaled_modified_bessel_k0_kernel_cudaERNS_18TensorIteratorBaseEENKUlvE_clEvENKUlvE_clEvEUldE_St5arrayIPcLm2EEEEviT0_T1_
; %bb.0:
	s_add_u32 flat_scratch_lo, s6, s9
	s_load_dword s6, s[4:5], 0x0
	s_load_dwordx4 s[20:23], s[4:5], 0x8
	s_addc_u32 flat_scratch_hi, s7, 0
	s_add_u32 s0, s0, s9
	s_addc_u32 s1, s1, 0
	s_lshl_b32 s4, s8, 10
	s_waitcnt lgkmcnt(0)
	s_sub_i32 s19, s6, s4
	s_mov_b32 s18, s8
	v_mov_b32_e32 v36, v0
	s_cmpk_gt_i32 s19, 0x3ff
	s_mov_b64 s[4:5], -1
	s_mov_b32 s32, 0
	s_cbranch_scc1 .LBB4_3
; %bb.1:
	s_andn2_b64 vcc, exec, s[4:5]
	s_cbranch_vccz .LBB4_4
.LBB4_2:
	s_endpgm
.LBB4_3:
	s_mov_b32 s12, s18
	v_mov_b32_e32 v31, v36
	v_mov_b32_e32 v0, s20
	;; [unrolled: 1-line block ×5, first 2 shown]
	s_getpc_b64 s[4:5]
	s_add_u32 s4, s4, _ZN2at6native25elementwise_kernel_helperILb0EZZZNS0_12_GLOBAL__N_137scaled_modified_bessel_k0_kernel_cudaERNS_18TensorIteratorBaseEENKUlvE_clEvENKUlvE_clEvEUldE_NS0_6memory8policies10vectorizedILi4ESt5arrayIPcLm2EELi4EEEEEvT0_T1_@rel32@lo+4
	s_addc_u32 s5, s5, _ZN2at6native25elementwise_kernel_helperILb0EZZZNS0_12_GLOBAL__N_137scaled_modified_bessel_k0_kernel_cudaERNS_18TensorIteratorBaseEENKUlvE_clEvENKUlvE_clEvEUldE_NS0_6memory8policies10vectorizedILi4ESt5arrayIPcLm2EELi4EEEEEvT0_T1_@rel32@hi+12
	s_swappc_b64 s[30:31], s[4:5]
	s_cbranch_execnz .LBB4_2
.LBB4_4:
	s_mov_b32 s12, s18
	v_mov_b32_e32 v31, v36
	v_mov_b32_e32 v0, s20
	;; [unrolled: 1-line block ×6, first 2 shown]
	s_getpc_b64 s[4:5]
	s_add_u32 s4, s4, _ZN2at6native25elementwise_kernel_helperILb0EZZZNS0_12_GLOBAL__N_137scaled_modified_bessel_k0_kernel_cudaERNS_18TensorIteratorBaseEENKUlvE_clEvENKUlvE_clEvEUldE_NS0_6memory8policies11unroll_baseILi256ESt5arrayIPcLm2EE23TrivialOffsetCalculatorILi1EjESF_NS8_15LoadWithoutCastENS8_16StoreWithoutCastELi4ELi1EEEEEvT0_T1_@rel32@lo+4
	s_addc_u32 s5, s5, _ZN2at6native25elementwise_kernel_helperILb0EZZZNS0_12_GLOBAL__N_137scaled_modified_bessel_k0_kernel_cudaERNS_18TensorIteratorBaseEENKUlvE_clEvENKUlvE_clEvEUldE_NS0_6memory8policies11unroll_baseILi256ESt5arrayIPcLm2EE23TrivialOffsetCalculatorILi1EjESF_NS8_15LoadWithoutCastENS8_16StoreWithoutCastELi4ELi1EEEEEvT0_T1_@rel32@hi+12
	s_swappc_b64 s[30:31], s[4:5]
	s_endpgm
	.section	.rodata,"a",@progbits
	.p2align	6, 0x0
	.amdhsa_kernel _ZN2at6native29vectorized_elementwise_kernelILi4EZZZNS0_12_GLOBAL__N_137scaled_modified_bessel_k0_kernel_cudaERNS_18TensorIteratorBaseEENKUlvE_clEvENKUlvE_clEvEUldE_St5arrayIPcLm2EEEEviT0_T1_
		.amdhsa_group_segment_fixed_size 0
		.amdhsa_private_segment_fixed_size 0
		.amdhsa_kernarg_size 24
		.amdhsa_user_sgpr_count 8
		.amdhsa_user_sgpr_private_segment_buffer 1
		.amdhsa_user_sgpr_dispatch_ptr 0
		.amdhsa_user_sgpr_queue_ptr 0
		.amdhsa_user_sgpr_kernarg_segment_ptr 1
		.amdhsa_user_sgpr_dispatch_id 0
		.amdhsa_user_sgpr_flat_scratch_init 1
		.amdhsa_user_sgpr_kernarg_preload_length 0
		.amdhsa_user_sgpr_kernarg_preload_offset 0
		.amdhsa_user_sgpr_private_segment_size 0
		.amdhsa_uses_dynamic_stack 0
		.amdhsa_system_sgpr_private_segment_wavefront_offset 0
		.amdhsa_system_sgpr_workgroup_id_x 1
		.amdhsa_system_sgpr_workgroup_id_y 0
		.amdhsa_system_sgpr_workgroup_id_z 0
		.amdhsa_system_sgpr_workgroup_info 0
		.amdhsa_system_vgpr_workitem_id 0
		.amdhsa_next_free_vgpr 40
		.amdhsa_next_free_sgpr 33
		.amdhsa_accum_offset 40
		.amdhsa_reserve_vcc 1
		.amdhsa_reserve_flat_scratch 1
		.amdhsa_float_round_mode_32 0
		.amdhsa_float_round_mode_16_64 0
		.amdhsa_float_denorm_mode_32 3
		.amdhsa_float_denorm_mode_16_64 3
		.amdhsa_dx10_clamp 1
		.amdhsa_ieee_mode 1
		.amdhsa_fp16_overflow 0
		.amdhsa_tg_split 0
		.amdhsa_exception_fp_ieee_invalid_op 0
		.amdhsa_exception_fp_denorm_src 0
		.amdhsa_exception_fp_ieee_div_zero 0
		.amdhsa_exception_fp_ieee_overflow 0
		.amdhsa_exception_fp_ieee_underflow 0
		.amdhsa_exception_fp_ieee_inexact 0
		.amdhsa_exception_int_div_zero 0
	.end_amdhsa_kernel
	.section	.text._ZN2at6native29vectorized_elementwise_kernelILi4EZZZNS0_12_GLOBAL__N_137scaled_modified_bessel_k0_kernel_cudaERNS_18TensorIteratorBaseEENKUlvE_clEvENKUlvE_clEvEUldE_St5arrayIPcLm2EEEEviT0_T1_,"axG",@progbits,_ZN2at6native29vectorized_elementwise_kernelILi4EZZZNS0_12_GLOBAL__N_137scaled_modified_bessel_k0_kernel_cudaERNS_18TensorIteratorBaseEENKUlvE_clEvENKUlvE_clEvEUldE_St5arrayIPcLm2EEEEviT0_T1_,comdat
.Lfunc_end4:
	.size	_ZN2at6native29vectorized_elementwise_kernelILi4EZZZNS0_12_GLOBAL__N_137scaled_modified_bessel_k0_kernel_cudaERNS_18TensorIteratorBaseEENKUlvE_clEvENKUlvE_clEvEUldE_St5arrayIPcLm2EEEEviT0_T1_, .Lfunc_end4-_ZN2at6native29vectorized_elementwise_kernelILi4EZZZNS0_12_GLOBAL__N_137scaled_modified_bessel_k0_kernel_cudaERNS_18TensorIteratorBaseEENKUlvE_clEvENKUlvE_clEvEUldE_St5arrayIPcLm2EEEEviT0_T1_
                                        ; -- End function
	.section	.AMDGPU.csdata,"",@progbits
; Kernel info:
; codeLenInByte = 188
; NumSgprs: 39
; NumVgprs: 40
; NumAgprs: 0
; TotalNumVgprs: 40
; ScratchSize: 0
; MemoryBound: 0
; FloatMode: 240
; IeeeMode: 1
; LDSByteSize: 0 bytes/workgroup (compile time only)
; SGPRBlocks: 4
; VGPRBlocks: 4
; NumSGPRsForWavesPerEU: 39
; NumVGPRsForWavesPerEU: 40
; AccumOffset: 40
; Occupancy: 8
; WaveLimiterHint : 0
; COMPUTE_PGM_RSRC2:SCRATCH_EN: 0
; COMPUTE_PGM_RSRC2:USER_SGPR: 8
; COMPUTE_PGM_RSRC2:TRAP_HANDLER: 0
; COMPUTE_PGM_RSRC2:TGID_X_EN: 1
; COMPUTE_PGM_RSRC2:TGID_Y_EN: 0
; COMPUTE_PGM_RSRC2:TGID_Z_EN: 0
; COMPUTE_PGM_RSRC2:TIDIG_COMP_CNT: 0
; COMPUTE_PGM_RSRC3_GFX90A:ACCUM_OFFSET: 9
; COMPUTE_PGM_RSRC3_GFX90A:TG_SPLIT: 0
	.section	.text._ZN2at6native29vectorized_elementwise_kernelILi2EZZZNS0_12_GLOBAL__N_137scaled_modified_bessel_k0_kernel_cudaERNS_18TensorIteratorBaseEENKUlvE_clEvENKUlvE_clEvEUldE_St5arrayIPcLm2EEEEviT0_T1_,"axG",@progbits,_ZN2at6native29vectorized_elementwise_kernelILi2EZZZNS0_12_GLOBAL__N_137scaled_modified_bessel_k0_kernel_cudaERNS_18TensorIteratorBaseEENKUlvE_clEvENKUlvE_clEvEUldE_St5arrayIPcLm2EEEEviT0_T1_,comdat
	.globl	_ZN2at6native29vectorized_elementwise_kernelILi2EZZZNS0_12_GLOBAL__N_137scaled_modified_bessel_k0_kernel_cudaERNS_18TensorIteratorBaseEENKUlvE_clEvENKUlvE_clEvEUldE_St5arrayIPcLm2EEEEviT0_T1_ ; -- Begin function _ZN2at6native29vectorized_elementwise_kernelILi2EZZZNS0_12_GLOBAL__N_137scaled_modified_bessel_k0_kernel_cudaERNS_18TensorIteratorBaseEENKUlvE_clEvENKUlvE_clEvEUldE_St5arrayIPcLm2EEEEviT0_T1_
	.p2align	8
	.type	_ZN2at6native29vectorized_elementwise_kernelILi2EZZZNS0_12_GLOBAL__N_137scaled_modified_bessel_k0_kernel_cudaERNS_18TensorIteratorBaseEENKUlvE_clEvENKUlvE_clEvEUldE_St5arrayIPcLm2EEEEviT0_T1_,@function
_ZN2at6native29vectorized_elementwise_kernelILi2EZZZNS0_12_GLOBAL__N_137scaled_modified_bessel_k0_kernel_cudaERNS_18TensorIteratorBaseEENKUlvE_clEvENKUlvE_clEvEUldE_St5arrayIPcLm2EEEEviT0_T1_: ; @_ZN2at6native29vectorized_elementwise_kernelILi2EZZZNS0_12_GLOBAL__N_137scaled_modified_bessel_k0_kernel_cudaERNS_18TensorIteratorBaseEENKUlvE_clEvENKUlvE_clEvEUldE_St5arrayIPcLm2EEEEviT0_T1_
; %bb.0:
	s_add_u32 flat_scratch_lo, s6, s9
	s_load_dword s6, s[4:5], 0x0
	s_load_dwordx4 s[16:19], s[4:5], 0x8
	s_addc_u32 flat_scratch_hi, s7, 0
	s_add_u32 s0, s0, s9
	s_addc_u32 s1, s1, 0
	s_lshl_b32 s4, s8, 10
	s_waitcnt lgkmcnt(0)
	s_sub_i32 s9, s6, s4
	s_cmpk_gt_i32 s9, 0x3ff
	s_mov_b64 s[6:7], -1
	s_mov_b32 s32, 0
	s_cbranch_scc1 .LBB5_3
; %bb.1:
	s_and_b64 vcc, exec, s[6:7]
	s_cbranch_vccnz .LBB5_52
.LBB5_2:
	s_endpgm
.LBB5_3:
	s_ashr_i32 s5, s4, 31
	s_lshl_b64 s[4:5], s[4:5], 3
	s_add_u32 s6, s18, s4
	s_addc_u32 s7, s19, s5
	v_lshlrev_b32_e32 v1, 4, v0
	v_mov_b32_e32 v2, s7
	v_add_co_u32_e32 v3, vcc, s6, v1
	v_addc_co_u32_e32 v4, vcc, 0, v2, vcc
	v_add_co_u32_e32 v2, vcc, 0x1000, v3
	global_load_dwordx4 v[10:13], v1, s[6:7]
	v_addc_co_u32_e32 v3, vcc, 0, v4, vcc
	global_load_dwordx4 v[6:9], v[2:3], off
	v_mov_b32_e32 v4, 0
	v_mov_b32_e32 v5, 0x7ff00000
	v_pk_mov_b32 v[2:3], v[4:5], v[4:5] op_sel:[0,1]
	s_waitcnt vmcnt(1)
	v_cmp_neq_f64_e32 vcc, 0, v[10:11]
	s_and_saveexec_b64 s[6:7], vcc
	s_cbranch_execz .LBB5_15
; %bb.4:
	v_mov_b32_e32 v2, 0
	v_cmp_ngt_f64_e32 vcc, 0, v[10:11]
	v_mov_b32_e32 v3, 0x7ff80000
	s_and_saveexec_b64 s[10:11], vcc
	s_cbranch_execz .LBB5_14
; %bb.5:
	v_cmp_ge_f64_e32 vcc, 2.0, v[10:11]
	s_and_saveexec_b64 s[12:13], vcc
	s_xor_b64 s[12:13], exec, s[12:13]
	s_cbranch_execz .LBB5_11
; %bb.6:
	s_mov_b32 s14, 0
	s_mov_b32 s15, 0x40200000
	v_mul_f64 v[2:3], v[10:11], 0.5
	v_cmp_ge_f64_e32 vcc, s[14:15], v[10:11]
                                        ; implicit-def: $vgpr16_vgpr17
                                        ; implicit-def: $vgpr14_vgpr15
	s_and_saveexec_b64 s[14:15], vcc
	s_xor_b64 s[14:15], exec, s[14:15]
	s_cbranch_execz .LBB5_8
; %bb.7:
	s_mov_b32 s20, 0x2134d0ef
	v_add_f64 v[14:15], v[2:3], -2.0
	v_mov_b32_e32 v16, 0x977da589
	v_mov_b32_e32 v17, 0x3c833362
	s_mov_b32 s21, 0xbc545cb7
	v_fmac_f64_e32 v[16:17], s[20:21], v[14:15]
	v_mov_b32_e32 v18, 0x2134d0ef
	v_mov_b32_e32 v19, 0x3c545cb7
	s_mov_b32 s20, 0x721ebbb4
	v_fmac_f64_e32 v[18:19], v[14:15], v[16:17]
	s_mov_b32 s21, 0xbcb184eb
	v_add_f64 v[18:19], v[18:19], s[20:21]
	s_mov_b32 s20, 0x93f65eba
	v_fma_f64 v[16:17], v[14:15], v[18:19], -v[16:17]
	s_mov_b32 s21, 0x3cdee6d8
	v_add_f64 v[16:17], v[16:17], s[20:21]
	s_mov_b32 s20, 0xc297fbeb
	v_fma_f64 v[18:19], v[14:15], v[16:17], -v[18:19]
	;; [unrolled: 4-line block ×27, first 2 shown]
	s_mov_b32 s21, 0x3fe5a84e
	v_add_f64 v[18:19], v[14:15], s[20:21]
	s_mov_b32 s20, 0x652b82fe
	s_mov_b32 s21, 0x3ff71547
	v_mul_f64 v[14:15], v[10:11], s[20:21]
	s_mov_b32 s20, 0xfefa39ef
	v_rndne_f64_e32 v[14:15], v[14:15]
	s_mov_b32 s21, 0xbfe62e42
	v_fma_f64 v[20:21], s[20:21], v[14:15], v[10:11]
	s_mov_b32 s20, 0x3b39803f
	s_mov_b32 s21, 0xbc7abc9e
	v_fmac_f64_e32 v[20:21], s[20:21], v[14:15]
	s_mov_b32 s20, 0x6a5dcb37
	v_mov_b32_e32 v22, 0xfca7ab0c
	v_mov_b32_e32 v23, 0x3e928af3
	s_mov_b32 s21, 0x3e5ade15
	v_fmac_f64_e32 v[22:23], s[20:21], v[20:21]
	v_mov_b32_e32 v24, 0x623fde64
	v_mov_b32_e32 v25, 0x3ec71dee
	v_fmac_f64_e32 v[24:25], v[20:21], v[22:23]
	v_mov_b32_e32 v22, 0x7c89e6b0
	v_mov_b32_e32 v23, 0x3efa0199
	;; [unrolled: 3-line block ×8, first 2 shown]
	v_fmac_f64_e32 v[22:23], v[20:21], v[24:25]
	v_fma_f64 v[22:23], v[20:21], v[22:23], 1.0
	s_mov_b32 s20, 0
	v_fma_f64 v[20:21], v[20:21], v[22:23], 1.0
	v_cvt_i32_f64_e32 v14, v[14:15]
	s_mov_b32 s21, 0x40900000
	v_ldexp_f64 v[14:15], v[20:21], v14
	v_mov_b32_e32 v20, 0x7ff00000
	v_cmp_nlt_f64_e32 vcc, s[20:21], v[10:11]
	v_add_f64 v[16:17], v[18:19], -v[16:17]
	v_cndmask_b32_e32 v15, v20, v15, vcc
	v_cndmask_b32_e32 v14, 0, v14, vcc
	v_mul_f64 v[16:17], v[16:17], 0.5
	v_mul_f64 v[16:17], v[14:15], v[16:17]
.LBB5_8:
	s_andn2_saveexec_b64 s[14:15], s[14:15]
	s_cbranch_execz .LBB5_10
; %bb.9:
	s_mov_b32 s20, 0
	s_mov_b32 s21, 0x40400000
	v_div_scale_f64 v[14:15], s[22:23], v[10:11], v[10:11], s[20:21]
	v_rcp_f64_e32 v[16:17], v[14:15]
	v_mov_b32_e32 v22, 0xfca7ab0c
	v_mov_b32_e32 v23, 0x3e928af3
	;; [unrolled: 1-line block ×3, first 2 shown]
	v_fma_f64 v[18:19], -v[14:15], v[16:17], 1.0
	v_fmac_f64_e32 v[16:17], v[16:17], v[18:19]
	v_fma_f64 v[18:19], -v[14:15], v[16:17], 1.0
	v_fmac_f64_e32 v[16:17], v[16:17], v[18:19]
	v_div_scale_f64 v[18:19], vcc, s[20:21], v[10:11], s[20:21]
	v_mul_f64 v[20:21], v[18:19], v[16:17]
	v_fma_f64 v[14:15], -v[14:15], v[20:21], v[18:19]
	v_mov_b32_e32 v18, 0x54ca8b19
	s_nop 0
	v_div_fmas_f64 v[14:15], v[14:15], v[16:17], v[20:21]
	v_div_fixup_f64 v[14:15], v[14:15], v[10:11], s[20:21]
	s_mov_b32 s20, 0x54ca8b19
	v_add_f64 v[14:15], v[14:15], -2.0
	v_mov_b32_e32 v16, 0x66119130
	v_mov_b32_e32 v17, 0xbc5646da
	s_mov_b32 s21, 0xbc60adb7
	v_fmac_f64_e32 v[16:17], s[20:21], v[14:15]
	v_mov_b32_e32 v19, 0x3c60adb7
	s_mov_b32 s20, 0x12d98421
	v_fmac_f64_e32 v[18:19], v[14:15], v[16:17]
	s_mov_b32 s21, 0x3c89be18
	v_add_f64 v[18:19], v[18:19], s[20:21]
	s_mov_b32 s20, 0x76041cd
	v_fma_f64 v[16:17], v[14:15], v[18:19], -v[16:17]
	s_mov_b32 s21, 0x3c83f3dd
	v_add_f64 v[16:17], v[16:17], s[20:21]
	s_mov_b32 s20, 0xabd21fe4
	v_fma_f64 v[18:19], v[14:15], v[16:17], -v[18:19]
	;; [unrolled: 4-line block ×22, first 2 shown]
	s_mov_b32 s21, 0x3fe9be62
	v_add_f64 v[16:17], v[14:15], s[20:21]
	s_mov_b32 s20, 0x652b82fe
	s_mov_b32 s21, 0x3ff71547
	v_mul_f64 v[14:15], v[10:11], s[20:21]
	s_mov_b32 s20, 0xfefa39ef
	v_rndne_f64_e32 v[14:15], v[14:15]
	s_mov_b32 s21, 0xbfe62e42
	v_fma_f64 v[20:21], s[20:21], v[14:15], v[10:11]
	s_mov_b32 s20, 0x3b39803f
	s_mov_b32 s21, 0xbc7abc9e
	v_fmac_f64_e32 v[20:21], s[20:21], v[14:15]
	s_mov_b32 s20, 0x6a5dcb37
	s_mov_b32 s21, 0x3e5ade15
	v_fmac_f64_e32 v[22:23], s[20:21], v[20:21]
	v_mov_b32_e32 v25, 0x3ec71dee
	v_fmac_f64_e32 v[24:25], v[20:21], v[22:23]
	v_mov_b32_e32 v22, 0x7c89e6b0
	v_mov_b32_e32 v23, 0x3efa0199
	v_fmac_f64_e32 v[22:23], v[20:21], v[24:25]
	v_mov_b32_e32 v24, 0x14761f6e
	;; [unrolled: 3-line block ×7, first 2 shown]
	v_mov_b32_e32 v23, 0x3fe00000
	v_fmac_f64_e32 v[22:23], v[20:21], v[24:25]
	s_mov_b32 s20, 0
	v_fma_f64 v[22:23], v[20:21], v[22:23], 1.0
	s_mov_b32 s21, 0x40900000
	v_fma_f64 v[20:21], v[20:21], v[22:23], 1.0
	v_cvt_i32_f64_e32 v14, v[14:15]
	v_cmp_nlt_f64_e32 vcc, s[20:21], v[10:11]
	s_mov_b32 s20, 0
	v_ldexp_f64 v[14:15], v[20:21], v14
	v_mov_b32_e32 v20, 0x7ff00000
	s_brev_b32 s21, 8
	v_cndmask_b32_e32 v15, v20, v15, vcc
	v_cndmask_b32_e32 v14, 0, v14, vcc
	v_cmp_gt_f64_e32 vcc, s[20:21], v[10:11]
	v_cndmask_b32_e64 v20, 0, 1, vcc
	v_lshlrev_b32_e32 v20, 8, v20
	v_ldexp_f64 v[20:21], v[10:11], v20
	v_rsq_f64_e32 v[22:23], v[20:21]
	v_add_f64 v[16:17], v[16:17], -v[18:19]
	v_mul_f64 v[16:17], v[16:17], 0.5
	v_mul_f64 v[16:17], v[14:15], v[16:17]
	v_mul_f64 v[18:19], v[20:21], v[22:23]
	v_mul_f64 v[22:23], v[22:23], 0.5
	v_fma_f64 v[24:25], -v[22:23], v[18:19], 0.5
	v_fmac_f64_e32 v[18:19], v[18:19], v[24:25]
	v_fma_f64 v[26:27], -v[18:19], v[18:19], v[20:21]
	v_fmac_f64_e32 v[22:23], v[22:23], v[24:25]
	v_fmac_f64_e32 v[18:19], v[26:27], v[22:23]
	v_fma_f64 v[24:25], -v[18:19], v[18:19], v[20:21]
	v_fmac_f64_e32 v[18:19], v[24:25], v[22:23]
	v_mov_b32_e32 v22, 0xffffff80
	v_cndmask_b32_e32 v22, 0, v22, vcc
	v_ldexp_f64 v[18:19], v[18:19], v22
	v_mov_b32_e32 v22, 0x260
	v_cmp_class_f64_e32 vcc, v[20:21], v22
	v_cndmask_b32_e32 v19, v19, v21, vcc
	v_cndmask_b32_e32 v18, v18, v20, vcc
	v_div_scale_f64 v[20:21], s[20:21], v[18:19], v[18:19], v[16:17]
	v_rcp_f64_e32 v[22:23], v[20:21]
	v_fma_f64 v[24:25], -v[20:21], v[22:23], 1.0
	v_fmac_f64_e32 v[22:23], v[22:23], v[24:25]
	v_fma_f64 v[24:25], -v[20:21], v[22:23], 1.0
	v_fmac_f64_e32 v[22:23], v[22:23], v[24:25]
	v_div_scale_f64 v[24:25], vcc, v[16:17], v[18:19], v[16:17]
	v_mul_f64 v[26:27], v[24:25], v[22:23]
	v_fma_f64 v[20:21], -v[20:21], v[26:27], v[24:25]
	s_nop 1
	v_div_fmas_f64 v[20:21], v[20:21], v[22:23], v[26:27]
	v_div_fixup_f64 v[16:17], v[20:21], v[18:19], v[16:17]
.LBB5_10:
	s_or_b64 exec, exec, s[14:15]
	s_mov_b32 s14, 0xe6a7fd77
	v_fma_f64 v[10:11], v[10:11], v[10:11], -2.0
	v_mov_b32_e32 v18, 0xc384c2aa
	v_mov_b32_e32 v19, 0x3d27fb0a
	s_mov_b32 s15, 0x3ca3cee1
	v_fmac_f64_e32 v[18:19], s[14:15], v[10:11]
	v_mov_b32_e32 v20, 0xe6a7fd77
	v_mov_b32_e32 v21, 0xbca3cee1
	s_mov_b32 s14, 0x47512144
	v_fmac_f64_e32 v[20:21], v[10:11], v[18:19]
	s_mov_b32 s15, 0x3da6c25c
	v_add_f64 v[20:21], v[20:21], s[14:15]
	s_mov_b32 s14, 0x67e58a13
	v_fma_f64 v[18:19], v[10:11], v[20:21], -v[18:19]
	s_mov_b32 s15, 0x3e205c13
	v_add_f64 v[18:19], v[18:19], s[14:15]
	s_mov_b32 s14, 0xe7f95efc
	v_fma_f64 v[20:21], v[10:11], v[18:19], -v[20:21]
	s_mov_b32 s15, 0x3e9102bc
	v_add_f64 v[20:21], v[20:21], s[14:15]
	s_mov_b32 s14, 0xfe8cfca0
	v_fma_f64 v[18:19], v[10:11], v[20:21], -v[18:19]
	s_mov_b32 s15, 0x3ef7f900
	v_add_f64 v[18:19], v[18:19], s[14:15]
	s_mov_b32 s14, 0x75633d73
	v_fma_f64 v[20:21], v[10:11], v[18:19], -v[20:21]
	s_mov_b32 s15, 0x3f54b82e
	v_add_f64 v[20:21], v[20:21], s[14:15]
	s_mov_b32 s14, 0x554a9085
	v_fma_f64 v[18:19], v[10:11], v[20:21], -v[18:19]
	s_mov_b32 s15, 0x3fa26bf6
	v_add_f64 v[18:19], v[18:19], s[14:15]
	s_mov_b32 s14, 0x81213db9
	v_fma_f64 v[20:21], v[10:11], v[18:19], -v[20:21]
	s_mov_b32 s15, 0x3fd608d8
	v_add_f64 v[20:21], v[20:21], s[14:15]
	s_mov_b32 s14, 0xe9d2f61f
	v_fma_f64 v[10:11], v[10:11], v[20:21], -v[18:19]
	s_mov_b32 s15, 0xbfe12166
	v_add_f64 v[10:11], v[10:11], s[14:15]
	s_mov_b32 s14, 0x55555555
	v_add_f64 v[10:11], v[10:11], -v[18:19]
	v_frexp_mant_f64_e32 v[18:19], v[2:3]
	s_mov_b32 s15, 0x3fe55555
	v_mov_b32_e32 v20, 0x3ff00000
	v_cmp_gt_f64_e32 vcc, s[14:15], v[18:19]
	v_cndmask_b32_e64 v21, v20, 2.0, vcc
	v_mov_b32_e32 v20, 0
	v_mul_f64 v[18:19], v[18:19], v[20:21]
	v_frexp_exp_i32_f64_e32 v22, v[2:3]
	v_add_f64 v[20:21], v[18:19], 1.0
	v_subbrev_co_u32_e32 v32, vcc, 0, v22, vcc
	v_rcp_f64_e32 v[22:23], v[20:21]
	v_add_f64 v[26:27], v[20:21], -1.0
	v_add_f64 v[24:25], v[18:19], -1.0
	v_add_f64 v[18:19], v[18:19], -v[26:27]
	v_fma_f64 v[26:27], -v[20:21], v[22:23], 1.0
	v_fmac_f64_e32 v[22:23], v[26:27], v[22:23]
	v_fma_f64 v[26:27], -v[20:21], v[22:23], 1.0
	v_fmac_f64_e32 v[22:23], v[26:27], v[22:23]
	v_mul_f64 v[26:27], v[24:25], v[22:23]
	v_mul_f64 v[28:29], v[20:21], v[26:27]
	v_fma_f64 v[20:21], v[26:27], v[20:21], -v[28:29]
	v_fmac_f64_e32 v[20:21], v[26:27], v[18:19]
	v_add_f64 v[18:19], v[28:29], v[20:21]
	v_add_f64 v[30:31], v[24:25], -v[18:19]
	v_add_f64 v[28:29], v[18:19], -v[28:29]
	;; [unrolled: 1-line block ×5, first 2 shown]
	v_add_f64 v[18:19], v[20:21], v[18:19]
	v_add_f64 v[18:19], v[30:31], v[18:19]
	v_mul_f64 v[18:19], v[22:23], v[18:19]
	v_add_f64 v[20:21], v[26:27], v[18:19]
	v_add_f64 v[22:23], v[20:21], -v[26:27]
	s_mov_b32 s14, 0xbf559e2b
	v_add_f64 v[18:19], v[18:19], -v[22:23]
	v_mul_f64 v[22:23], v[20:21], v[20:21]
	v_mov_b32_e32 v24, 0x6b47b09a
	v_mov_b32_e32 v25, 0x3fc38538
	s_mov_b32 s15, 0x3fc3ab76
	v_fmac_f64_e32 v[24:25], s[14:15], v[22:23]
	v_mov_b32_e32 v26, 0xd7f4df2e
	v_mov_b32_e32 v27, 0x3fc7474d
	v_fmac_f64_e32 v[26:27], v[22:23], v[24:25]
	v_mov_b32_e32 v24, 0x16291751
	v_mov_b32_e32 v25, 0x3fcc71c0
	v_fmac_f64_e32 v[24:25], v[22:23], v[26:27]
	v_mov_b32_e32 v26, 0x9b27acf1
	v_mov_b32_e32 v27, 0x3fd24924
	v_fmac_f64_e32 v[26:27], v[22:23], v[24:25]
	v_mov_b32_e32 v24, 0x998ef7b6
	v_mov_b32_e32 v25, 0x3fd99999
	v_fmac_f64_e32 v[24:25], v[22:23], v[26:27]
	v_mov_b32_e32 v26, 0x55555780
	v_mov_b32_e32 v27, 0x3fe55555
	v_fmac_f64_e32 v[26:27], v[22:23], v[24:25]
	v_ldexp_f64 v[24:25], v[20:21], 1
	v_mul_f64 v[20:21], v[20:21], v[22:23]
	v_mul_f64 v[20:21], v[20:21], v[26:27]
	v_add_f64 v[22:23], v[24:25], v[20:21]
	v_add_f64 v[24:25], v[22:23], -v[24:25]
	v_ldexp_f64 v[18:19], v[18:19], 1
	v_add_f64 v[20:21], v[20:21], -v[24:25]
	v_add_f64 v[18:19], v[18:19], v[20:21]
	v_add_f64 v[20:21], v[22:23], v[18:19]
	v_add_f64 v[22:23], v[20:21], -v[22:23]
	s_mov_b32 s14, 0xfefa39ef
	v_add_f64 v[18:19], v[18:19], -v[22:23]
	v_cvt_f64_i32_e32 v[22:23], v32
	s_mov_b32 s15, 0x3fe62e42
	v_mul_f64 v[24:25], v[22:23], s[14:15]
	v_fma_f64 v[26:27], v[22:23], s[14:15], -v[24:25]
	s_mov_b32 s14, 0x3b39803f
	s_mov_b32 s15, 0x3c7abc9e
	v_fmac_f64_e32 v[26:27], s[14:15], v[22:23]
	v_add_f64 v[22:23], v[24:25], v[26:27]
	v_add_f64 v[24:25], v[22:23], -v[24:25]
	v_add_f64 v[24:25], v[26:27], -v[24:25]
	v_add_f64 v[26:27], v[22:23], v[20:21]
	v_add_f64 v[28:29], v[26:27], -v[22:23]
	v_add_f64 v[30:31], v[26:27], -v[28:29]
	;; [unrolled: 1-line block ×4, first 2 shown]
	v_add_f64 v[20:21], v[20:21], v[22:23]
	v_add_f64 v[22:23], v[24:25], v[18:19]
	v_add_f64 v[28:29], v[22:23], -v[24:25]
	v_add_f64 v[30:31], v[22:23], -v[28:29]
	v_add_f64 v[20:21], v[22:23], v[20:21]
	v_add_f64 v[24:25], v[24:25], -v[30:31]
	v_add_f64 v[18:19], v[18:19], -v[28:29]
	v_add_f64 v[22:23], v[26:27], v[20:21]
	v_add_f64 v[18:19], v[18:19], v[24:25]
	v_add_f64 v[24:25], v[22:23], -v[26:27]
	v_add_f64 v[20:21], v[20:21], -v[24:25]
	s_mov_b32 s14, 0
	v_add_f64 v[18:19], v[18:19], v[20:21]
	s_mov_b32 s15, 0x7ff00000
	v_add_f64 v[18:19], v[22:23], v[18:19]
	v_cmp_eq_f64_e32 vcc, s[14:15], v[2:3]
	v_cndmask_b32_e32 v18, v18, v2, vcc
	v_cndmask_b32_e32 v19, v19, v3, vcc
	v_mov_b32_e32 v20, 0xfff00000
	v_cmp_neq_f64_e32 vcc, 0, v[2:3]
	v_cndmask_b32_e32 v3, v20, v19, vcc
	v_cndmask_b32_e32 v2, 0, v18, vcc
	v_mul_f64 v[2:3], v[2:3], v[16:17]
	v_fma_f64 v[2:3], v[10:11], 0.5, -v[2:3]
	v_mul_f64 v[2:3], v[14:15], v[2:3]
.LBB5_11:
	s_andn2_saveexec_b64 s[12:13], s[12:13]
	s_cbranch_execz .LBB5_13
; %bb.12:
	s_mov_b32 s14, 0
	s_mov_b32 s15, 0x40200000
	v_div_scale_f64 v[2:3], s[20:21], v[10:11], v[10:11], s[14:15]
	v_rcp_f64_e32 v[14:15], v[2:3]
	s_mov_b32 s20, 0
	s_brev_b32 s21, 8
	v_fma_f64 v[16:17], -v[2:3], v[14:15], 1.0
	v_fmac_f64_e32 v[14:15], v[14:15], v[16:17]
	v_fma_f64 v[16:17], -v[2:3], v[14:15], 1.0
	v_fmac_f64_e32 v[14:15], v[14:15], v[16:17]
	v_div_scale_f64 v[16:17], vcc, s[14:15], v[10:11], s[14:15]
	v_mul_f64 v[18:19], v[16:17], v[14:15]
	v_fma_f64 v[2:3], -v[2:3], v[18:19], v[16:17]
	v_mov_b32_e32 v16, 0xcf8c9ee1
	s_nop 0
	v_div_fmas_f64 v[2:3], v[2:3], v[14:15], v[18:19]
	v_div_fixup_f64 v[2:3], v[2:3], v[10:11], s[14:15]
	s_mov_b32 s14, 0xcf8c9ee1
	v_add_f64 v[2:3], v[2:3], -2.0
	v_mov_b32_e32 v14, 0x93812603
	v_mov_b32_e32 v15, 0xbc72fecc
	s_mov_b32 s15, 0x3c5871a5
	v_fmac_f64_e32 v[14:15], s[14:15], v[2:3]
	v_mov_b32_e32 v17, 0xbc5871a5
	s_mov_b32 s14, 0x41a8cdf4
	v_fmac_f64_e32 v[16:17], v[2:3], v[14:15]
	s_mov_b32 s15, 0x3c8e092e
	v_add_f64 v[16:17], v[16:17], s[14:15]
	s_mov_b32 s14, 0x74d77641
	v_fma_f64 v[14:15], v[2:3], v[16:17], -v[14:15]
	s_mov_b32 s15, 0xbca82f94
	v_add_f64 v[14:15], v[14:15], s[14:15]
	s_mov_b32 s14, 0x6b94785b
	v_fma_f64 v[16:17], v[2:3], v[14:15], -v[16:17]
	;; [unrolled: 4-line block ×21, first 2 shown]
	s_mov_b32 s15, 0xbfa019f7
	v_add_f64 v[14:15], v[14:15], s[14:15]
	v_cmp_gt_f64_e32 vcc, s[20:21], v[10:11]
	v_fma_f64 v[2:3], v[2:3], v[14:15], -v[16:17]
	v_cndmask_b32_e64 v14, 0, 1, vcc
	v_lshlrev_b32_e32 v14, 8, v14
	v_ldexp_f64 v[10:11], v[10:11], v14
	v_rsq_f64_e32 v[14:15], v[10:11]
	s_mov_b32 s14, 0x9f4e6907
	s_mov_b32 s15, 0x400385bd
	v_add_f64 v[2:3], v[2:3], s[14:15]
	v_add_f64 v[2:3], v[2:3], -v[16:17]
	v_mul_f64 v[16:17], v[10:11], v[14:15]
	v_mul_f64 v[14:15], v[14:15], 0.5
	v_fma_f64 v[18:19], -v[14:15], v[16:17], 0.5
	v_fmac_f64_e32 v[16:17], v[16:17], v[18:19]
	v_fma_f64 v[20:21], -v[16:17], v[16:17], v[10:11]
	v_fmac_f64_e32 v[14:15], v[14:15], v[18:19]
	v_fmac_f64_e32 v[16:17], v[20:21], v[14:15]
	v_fma_f64 v[18:19], -v[16:17], v[16:17], v[10:11]
	v_fmac_f64_e32 v[16:17], v[18:19], v[14:15]
	v_mov_b32_e32 v14, 0xffffff80
	v_cndmask_b32_e32 v14, 0, v14, vcc
	v_ldexp_f64 v[14:15], v[16:17], v14
	v_mov_b32_e32 v16, 0x260
	v_cmp_class_f64_e32 vcc, v[10:11], v16
	v_mul_f64 v[2:3], v[2:3], 0.5
	v_cndmask_b32_e32 v11, v15, v11, vcc
	v_cndmask_b32_e32 v10, v14, v10, vcc
	v_div_scale_f64 v[14:15], s[14:15], v[10:11], v[10:11], v[2:3]
	v_rcp_f64_e32 v[16:17], v[14:15]
	v_fma_f64 v[18:19], -v[14:15], v[16:17], 1.0
	v_fmac_f64_e32 v[16:17], v[16:17], v[18:19]
	v_fma_f64 v[18:19], -v[14:15], v[16:17], 1.0
	v_fmac_f64_e32 v[16:17], v[16:17], v[18:19]
	v_div_scale_f64 v[18:19], vcc, v[2:3], v[10:11], v[2:3]
	v_mul_f64 v[20:21], v[18:19], v[16:17]
	v_fma_f64 v[14:15], -v[14:15], v[20:21], v[18:19]
	s_nop 1
	v_div_fmas_f64 v[14:15], v[14:15], v[16:17], v[20:21]
	v_div_fixup_f64 v[2:3], v[14:15], v[10:11], v[2:3]
.LBB5_13:
	s_or_b64 exec, exec, s[12:13]
.LBB5_14:
	s_or_b64 exec, exec, s[10:11]
.LBB5_15:
	s_or_b64 exec, exec, s[6:7]
	v_cmp_neq_f64_e32 vcc, 0, v[12:13]
	s_and_saveexec_b64 s[6:7], vcc
	s_cbranch_execz .LBB5_27
; %bb.16:
	v_mov_b32_e32 v4, 0
	v_cmp_ngt_f64_e32 vcc, 0, v[12:13]
	v_mov_b32_e32 v5, 0x7ff80000
	s_and_saveexec_b64 s[10:11], vcc
	s_cbranch_execz .LBB5_26
; %bb.17:
	v_cmp_ge_f64_e32 vcc, 2.0, v[12:13]
	s_and_saveexec_b64 s[12:13], vcc
	s_xor_b64 s[12:13], exec, s[12:13]
	s_cbranch_execz .LBB5_23
; %bb.18:
	s_mov_b32 s14, 0
	s_mov_b32 s15, 0x40200000
	v_mul_f64 v[4:5], v[12:13], 0.5
	v_cmp_ge_f64_e32 vcc, s[14:15], v[12:13]
                                        ; implicit-def: $vgpr14_vgpr15
                                        ; implicit-def: $vgpr10_vgpr11
	s_and_saveexec_b64 s[14:15], vcc
	s_xor_b64 s[14:15], exec, s[14:15]
	s_cbranch_execz .LBB5_20
; %bb.19:
	s_mov_b32 s20, 0x2134d0ef
	v_add_f64 v[10:11], v[4:5], -2.0
	v_mov_b32_e32 v14, 0x977da589
	v_mov_b32_e32 v15, 0x3c833362
	s_mov_b32 s21, 0xbc545cb7
	v_fmac_f64_e32 v[14:15], s[20:21], v[10:11]
	v_mov_b32_e32 v16, 0x2134d0ef
	v_mov_b32_e32 v17, 0x3c545cb7
	s_mov_b32 s20, 0x721ebbb4
	v_fmac_f64_e32 v[16:17], v[10:11], v[14:15]
	s_mov_b32 s21, 0xbcb184eb
	v_add_f64 v[16:17], v[16:17], s[20:21]
	s_mov_b32 s20, 0x93f65eba
	v_fma_f64 v[14:15], v[10:11], v[16:17], -v[14:15]
	s_mov_b32 s21, 0x3cdee6d8
	v_add_f64 v[14:15], v[14:15], s[20:21]
	s_mov_b32 s20, 0xc297fbeb
	v_fma_f64 v[16:17], v[10:11], v[14:15], -v[16:17]
	;; [unrolled: 4-line block ×27, first 2 shown]
	s_mov_b32 s21, 0x3fe5a84e
	v_add_f64 v[16:17], v[10:11], s[20:21]
	s_mov_b32 s20, 0x652b82fe
	s_mov_b32 s21, 0x3ff71547
	v_mul_f64 v[10:11], v[12:13], s[20:21]
	s_mov_b32 s20, 0xfefa39ef
	v_rndne_f64_e32 v[10:11], v[10:11]
	s_mov_b32 s21, 0xbfe62e42
	v_fma_f64 v[18:19], s[20:21], v[10:11], v[12:13]
	s_mov_b32 s20, 0x3b39803f
	s_mov_b32 s21, 0xbc7abc9e
	v_fmac_f64_e32 v[18:19], s[20:21], v[10:11]
	s_mov_b32 s20, 0x6a5dcb37
	v_mov_b32_e32 v20, 0xfca7ab0c
	v_mov_b32_e32 v21, 0x3e928af3
	s_mov_b32 s21, 0x3e5ade15
	v_fmac_f64_e32 v[20:21], s[20:21], v[18:19]
	v_mov_b32_e32 v22, 0x623fde64
	v_mov_b32_e32 v23, 0x3ec71dee
	v_fmac_f64_e32 v[22:23], v[18:19], v[20:21]
	v_mov_b32_e32 v20, 0x7c89e6b0
	v_mov_b32_e32 v21, 0x3efa0199
	;; [unrolled: 3-line block ×8, first 2 shown]
	v_fmac_f64_e32 v[20:21], v[18:19], v[22:23]
	v_fma_f64 v[20:21], v[18:19], v[20:21], 1.0
	s_mov_b32 s20, 0
	v_fma_f64 v[18:19], v[18:19], v[20:21], 1.0
	v_cvt_i32_f64_e32 v10, v[10:11]
	s_mov_b32 s21, 0x40900000
	v_ldexp_f64 v[10:11], v[18:19], v10
	v_mov_b32_e32 v18, 0x7ff00000
	v_cmp_nlt_f64_e32 vcc, s[20:21], v[12:13]
	v_add_f64 v[14:15], v[16:17], -v[14:15]
	v_cndmask_b32_e32 v11, v18, v11, vcc
	v_cndmask_b32_e32 v10, 0, v10, vcc
	v_mul_f64 v[14:15], v[14:15], 0.5
	v_mul_f64 v[14:15], v[10:11], v[14:15]
.LBB5_20:
	s_andn2_saveexec_b64 s[14:15], s[14:15]
	s_cbranch_execz .LBB5_22
; %bb.21:
	s_mov_b32 s20, 0
	s_mov_b32 s21, 0x40400000
	v_div_scale_f64 v[10:11], s[22:23], v[12:13], v[12:13], s[20:21]
	v_rcp_f64_e32 v[14:15], v[10:11]
	v_mov_b32_e32 v20, 0xfca7ab0c
	v_mov_b32_e32 v21, 0x3e928af3
	;; [unrolled: 1-line block ×3, first 2 shown]
	v_fma_f64 v[16:17], -v[10:11], v[14:15], 1.0
	v_fmac_f64_e32 v[14:15], v[14:15], v[16:17]
	v_fma_f64 v[16:17], -v[10:11], v[14:15], 1.0
	v_fmac_f64_e32 v[14:15], v[14:15], v[16:17]
	v_div_scale_f64 v[16:17], vcc, s[20:21], v[12:13], s[20:21]
	v_mul_f64 v[18:19], v[16:17], v[14:15]
	v_fma_f64 v[10:11], -v[10:11], v[18:19], v[16:17]
	v_mov_b32_e32 v16, 0x54ca8b19
	s_nop 0
	v_div_fmas_f64 v[10:11], v[10:11], v[14:15], v[18:19]
	v_div_fixup_f64 v[10:11], v[10:11], v[12:13], s[20:21]
	s_mov_b32 s20, 0x54ca8b19
	v_add_f64 v[10:11], v[10:11], -2.0
	v_mov_b32_e32 v14, 0x66119130
	v_mov_b32_e32 v15, 0xbc5646da
	s_mov_b32 s21, 0xbc60adb7
	v_fmac_f64_e32 v[14:15], s[20:21], v[10:11]
	v_mov_b32_e32 v17, 0x3c60adb7
	s_mov_b32 s20, 0x12d98421
	v_fmac_f64_e32 v[16:17], v[10:11], v[14:15]
	s_mov_b32 s21, 0x3c89be18
	v_add_f64 v[16:17], v[16:17], s[20:21]
	s_mov_b32 s20, 0x76041cd
	v_fma_f64 v[14:15], v[10:11], v[16:17], -v[14:15]
	s_mov_b32 s21, 0x3c83f3dd
	v_add_f64 v[14:15], v[14:15], s[20:21]
	s_mov_b32 s20, 0xabd21fe4
	v_fma_f64 v[16:17], v[10:11], v[14:15], -v[16:17]
	;; [unrolled: 4-line block ×22, first 2 shown]
	s_mov_b32 s21, 0x3fe9be62
	v_add_f64 v[14:15], v[10:11], s[20:21]
	s_mov_b32 s20, 0x652b82fe
	s_mov_b32 s21, 0x3ff71547
	v_mul_f64 v[10:11], v[12:13], s[20:21]
	s_mov_b32 s20, 0xfefa39ef
	v_rndne_f64_e32 v[10:11], v[10:11]
	s_mov_b32 s21, 0xbfe62e42
	v_fma_f64 v[18:19], s[20:21], v[10:11], v[12:13]
	s_mov_b32 s20, 0x3b39803f
	s_mov_b32 s21, 0xbc7abc9e
	v_fmac_f64_e32 v[18:19], s[20:21], v[10:11]
	s_mov_b32 s20, 0x6a5dcb37
	s_mov_b32 s21, 0x3e5ade15
	v_fmac_f64_e32 v[20:21], s[20:21], v[18:19]
	v_mov_b32_e32 v23, 0x3ec71dee
	v_fmac_f64_e32 v[22:23], v[18:19], v[20:21]
	v_mov_b32_e32 v20, 0x7c89e6b0
	v_mov_b32_e32 v21, 0x3efa0199
	v_fmac_f64_e32 v[20:21], v[18:19], v[22:23]
	v_mov_b32_e32 v22, 0x14761f6e
	;; [unrolled: 3-line block ×7, first 2 shown]
	v_mov_b32_e32 v21, 0x3fe00000
	v_fmac_f64_e32 v[20:21], v[18:19], v[22:23]
	s_mov_b32 s20, 0
	v_fma_f64 v[20:21], v[18:19], v[20:21], 1.0
	s_mov_b32 s21, 0x40900000
	v_fma_f64 v[18:19], v[18:19], v[20:21], 1.0
	v_cvt_i32_f64_e32 v10, v[10:11]
	v_cmp_nlt_f64_e32 vcc, s[20:21], v[12:13]
	s_mov_b32 s20, 0
	v_ldexp_f64 v[10:11], v[18:19], v10
	v_mov_b32_e32 v18, 0x7ff00000
	s_brev_b32 s21, 8
	v_cndmask_b32_e32 v11, v18, v11, vcc
	v_cndmask_b32_e32 v10, 0, v10, vcc
	v_cmp_gt_f64_e32 vcc, s[20:21], v[12:13]
	v_cndmask_b32_e64 v18, 0, 1, vcc
	v_lshlrev_b32_e32 v18, 8, v18
	v_ldexp_f64 v[18:19], v[12:13], v18
	v_rsq_f64_e32 v[20:21], v[18:19]
	v_add_f64 v[14:15], v[14:15], -v[16:17]
	v_mul_f64 v[14:15], v[14:15], 0.5
	v_mul_f64 v[14:15], v[10:11], v[14:15]
	v_mul_f64 v[16:17], v[18:19], v[20:21]
	v_mul_f64 v[20:21], v[20:21], 0.5
	v_fma_f64 v[22:23], -v[20:21], v[16:17], 0.5
	v_fmac_f64_e32 v[16:17], v[16:17], v[22:23]
	v_fma_f64 v[24:25], -v[16:17], v[16:17], v[18:19]
	v_fmac_f64_e32 v[20:21], v[20:21], v[22:23]
	v_fmac_f64_e32 v[16:17], v[24:25], v[20:21]
	v_fma_f64 v[22:23], -v[16:17], v[16:17], v[18:19]
	v_fmac_f64_e32 v[16:17], v[22:23], v[20:21]
	v_mov_b32_e32 v20, 0xffffff80
	v_cndmask_b32_e32 v20, 0, v20, vcc
	v_ldexp_f64 v[16:17], v[16:17], v20
	v_mov_b32_e32 v20, 0x260
	v_cmp_class_f64_e32 vcc, v[18:19], v20
	v_cndmask_b32_e32 v17, v17, v19, vcc
	v_cndmask_b32_e32 v16, v16, v18, vcc
	v_div_scale_f64 v[18:19], s[20:21], v[16:17], v[16:17], v[14:15]
	v_rcp_f64_e32 v[20:21], v[18:19]
	v_fma_f64 v[22:23], -v[18:19], v[20:21], 1.0
	v_fmac_f64_e32 v[20:21], v[20:21], v[22:23]
	v_fma_f64 v[22:23], -v[18:19], v[20:21], 1.0
	v_fmac_f64_e32 v[20:21], v[20:21], v[22:23]
	v_div_scale_f64 v[22:23], vcc, v[14:15], v[16:17], v[14:15]
	v_mul_f64 v[24:25], v[22:23], v[20:21]
	v_fma_f64 v[18:19], -v[18:19], v[24:25], v[22:23]
	s_nop 1
	v_div_fmas_f64 v[18:19], v[18:19], v[20:21], v[24:25]
	v_div_fixup_f64 v[14:15], v[18:19], v[16:17], v[14:15]
.LBB5_22:
	s_or_b64 exec, exec, s[14:15]
	s_mov_b32 s14, 0xe6a7fd77
	v_fma_f64 v[12:13], v[12:13], v[12:13], -2.0
	v_mov_b32_e32 v16, 0xc384c2aa
	v_mov_b32_e32 v17, 0x3d27fb0a
	s_mov_b32 s15, 0x3ca3cee1
	v_fmac_f64_e32 v[16:17], s[14:15], v[12:13]
	v_mov_b32_e32 v18, 0xe6a7fd77
	v_mov_b32_e32 v19, 0xbca3cee1
	s_mov_b32 s14, 0x47512144
	v_fmac_f64_e32 v[18:19], v[12:13], v[16:17]
	s_mov_b32 s15, 0x3da6c25c
	v_add_f64 v[18:19], v[18:19], s[14:15]
	s_mov_b32 s14, 0x67e58a13
	v_fma_f64 v[16:17], v[12:13], v[18:19], -v[16:17]
	s_mov_b32 s15, 0x3e205c13
	v_add_f64 v[16:17], v[16:17], s[14:15]
	s_mov_b32 s14, 0xe7f95efc
	v_fma_f64 v[18:19], v[12:13], v[16:17], -v[18:19]
	s_mov_b32 s15, 0x3e9102bc
	v_add_f64 v[18:19], v[18:19], s[14:15]
	s_mov_b32 s14, 0xfe8cfca0
	v_fma_f64 v[16:17], v[12:13], v[18:19], -v[16:17]
	s_mov_b32 s15, 0x3ef7f900
	v_add_f64 v[16:17], v[16:17], s[14:15]
	s_mov_b32 s14, 0x75633d73
	v_fma_f64 v[18:19], v[12:13], v[16:17], -v[18:19]
	s_mov_b32 s15, 0x3f54b82e
	v_add_f64 v[18:19], v[18:19], s[14:15]
	s_mov_b32 s14, 0x554a9085
	v_fma_f64 v[16:17], v[12:13], v[18:19], -v[16:17]
	s_mov_b32 s15, 0x3fa26bf6
	v_add_f64 v[16:17], v[16:17], s[14:15]
	s_mov_b32 s14, 0x81213db9
	v_fma_f64 v[18:19], v[12:13], v[16:17], -v[18:19]
	s_mov_b32 s15, 0x3fd608d8
	v_add_f64 v[18:19], v[18:19], s[14:15]
	s_mov_b32 s14, 0xe9d2f61f
	v_fma_f64 v[12:13], v[12:13], v[18:19], -v[16:17]
	s_mov_b32 s15, 0xbfe12166
	v_add_f64 v[12:13], v[12:13], s[14:15]
	s_mov_b32 s14, 0x55555555
	v_add_f64 v[12:13], v[12:13], -v[16:17]
	v_frexp_mant_f64_e32 v[16:17], v[4:5]
	s_mov_b32 s15, 0x3fe55555
	v_mov_b32_e32 v18, 0x3ff00000
	v_cmp_gt_f64_e32 vcc, s[14:15], v[16:17]
	v_cndmask_b32_e64 v19, v18, 2.0, vcc
	v_mov_b32_e32 v18, 0
	v_mul_f64 v[16:17], v[16:17], v[18:19]
	v_frexp_exp_i32_f64_e32 v20, v[4:5]
	v_add_f64 v[18:19], v[16:17], 1.0
	v_subbrev_co_u32_e32 v30, vcc, 0, v20, vcc
	v_rcp_f64_e32 v[20:21], v[18:19]
	v_add_f64 v[24:25], v[18:19], -1.0
	v_add_f64 v[22:23], v[16:17], -1.0
	v_add_f64 v[16:17], v[16:17], -v[24:25]
	v_fma_f64 v[24:25], -v[18:19], v[20:21], 1.0
	v_fmac_f64_e32 v[20:21], v[24:25], v[20:21]
	v_fma_f64 v[24:25], -v[18:19], v[20:21], 1.0
	v_fmac_f64_e32 v[20:21], v[24:25], v[20:21]
	v_mul_f64 v[24:25], v[22:23], v[20:21]
	v_mul_f64 v[26:27], v[18:19], v[24:25]
	v_fma_f64 v[18:19], v[24:25], v[18:19], -v[26:27]
	v_fmac_f64_e32 v[18:19], v[24:25], v[16:17]
	v_add_f64 v[16:17], v[26:27], v[18:19]
	v_add_f64 v[28:29], v[22:23], -v[16:17]
	v_add_f64 v[26:27], v[16:17], -v[26:27]
	;; [unrolled: 1-line block ×5, first 2 shown]
	v_add_f64 v[16:17], v[18:19], v[16:17]
	v_add_f64 v[16:17], v[28:29], v[16:17]
	v_mul_f64 v[16:17], v[20:21], v[16:17]
	v_add_f64 v[18:19], v[24:25], v[16:17]
	v_add_f64 v[20:21], v[18:19], -v[24:25]
	s_mov_b32 s14, 0xbf559e2b
	v_add_f64 v[16:17], v[16:17], -v[20:21]
	v_mul_f64 v[20:21], v[18:19], v[18:19]
	v_mov_b32_e32 v22, 0x6b47b09a
	v_mov_b32_e32 v23, 0x3fc38538
	s_mov_b32 s15, 0x3fc3ab76
	v_fmac_f64_e32 v[22:23], s[14:15], v[20:21]
	v_mov_b32_e32 v24, 0xd7f4df2e
	v_mov_b32_e32 v25, 0x3fc7474d
	v_fmac_f64_e32 v[24:25], v[20:21], v[22:23]
	v_mov_b32_e32 v22, 0x16291751
	v_mov_b32_e32 v23, 0x3fcc71c0
	;; [unrolled: 3-line block ×5, first 2 shown]
	v_fmac_f64_e32 v[24:25], v[20:21], v[22:23]
	v_ldexp_f64 v[22:23], v[18:19], 1
	v_mul_f64 v[18:19], v[18:19], v[20:21]
	v_mul_f64 v[18:19], v[18:19], v[24:25]
	v_add_f64 v[20:21], v[22:23], v[18:19]
	v_add_f64 v[22:23], v[20:21], -v[22:23]
	v_ldexp_f64 v[16:17], v[16:17], 1
	v_add_f64 v[18:19], v[18:19], -v[22:23]
	v_add_f64 v[16:17], v[16:17], v[18:19]
	v_add_f64 v[18:19], v[20:21], v[16:17]
	v_add_f64 v[20:21], v[18:19], -v[20:21]
	s_mov_b32 s14, 0xfefa39ef
	v_add_f64 v[16:17], v[16:17], -v[20:21]
	v_cvt_f64_i32_e32 v[20:21], v30
	s_mov_b32 s15, 0x3fe62e42
	v_mul_f64 v[22:23], v[20:21], s[14:15]
	v_fma_f64 v[24:25], v[20:21], s[14:15], -v[22:23]
	s_mov_b32 s14, 0x3b39803f
	s_mov_b32 s15, 0x3c7abc9e
	v_fmac_f64_e32 v[24:25], s[14:15], v[20:21]
	v_add_f64 v[20:21], v[22:23], v[24:25]
	v_add_f64 v[22:23], v[20:21], -v[22:23]
	v_add_f64 v[22:23], v[24:25], -v[22:23]
	v_add_f64 v[24:25], v[20:21], v[18:19]
	v_add_f64 v[26:27], v[24:25], -v[20:21]
	v_add_f64 v[28:29], v[24:25], -v[26:27]
	;; [unrolled: 1-line block ×4, first 2 shown]
	v_add_f64 v[18:19], v[18:19], v[20:21]
	v_add_f64 v[20:21], v[22:23], v[16:17]
	v_add_f64 v[26:27], v[20:21], -v[22:23]
	v_add_f64 v[28:29], v[20:21], -v[26:27]
	v_add_f64 v[18:19], v[20:21], v[18:19]
	v_add_f64 v[22:23], v[22:23], -v[28:29]
	v_add_f64 v[16:17], v[16:17], -v[26:27]
	v_add_f64 v[20:21], v[24:25], v[18:19]
	v_add_f64 v[16:17], v[16:17], v[22:23]
	v_add_f64 v[22:23], v[20:21], -v[24:25]
	v_add_f64 v[18:19], v[18:19], -v[22:23]
	s_mov_b32 s14, 0
	v_add_f64 v[16:17], v[16:17], v[18:19]
	s_mov_b32 s15, 0x7ff00000
	v_add_f64 v[16:17], v[20:21], v[16:17]
	v_cmp_eq_f64_e32 vcc, s[14:15], v[4:5]
	v_cndmask_b32_e32 v16, v16, v4, vcc
	v_cndmask_b32_e32 v17, v17, v5, vcc
	v_mov_b32_e32 v18, 0xfff00000
	v_cmp_neq_f64_e32 vcc, 0, v[4:5]
	v_cndmask_b32_e32 v5, v18, v17, vcc
	v_cndmask_b32_e32 v4, 0, v16, vcc
	v_mul_f64 v[4:5], v[4:5], v[14:15]
	v_fma_f64 v[4:5], v[12:13], 0.5, -v[4:5]
	v_mul_f64 v[4:5], v[10:11], v[4:5]
                                        ; implicit-def: $vgpr12_vgpr13
.LBB5_23:
	s_andn2_saveexec_b64 s[12:13], s[12:13]
	s_cbranch_execz .LBB5_25
; %bb.24:
	s_mov_b32 s14, 0
	s_mov_b32 s15, 0x40200000
	v_div_scale_f64 v[4:5], s[20:21], v[12:13], v[12:13], s[14:15]
	v_rcp_f64_e32 v[10:11], v[4:5]
	s_mov_b32 s20, 0
	s_brev_b32 s21, 8
	v_fma_f64 v[14:15], -v[4:5], v[10:11], 1.0
	v_fmac_f64_e32 v[10:11], v[10:11], v[14:15]
	v_fma_f64 v[14:15], -v[4:5], v[10:11], 1.0
	v_fmac_f64_e32 v[10:11], v[10:11], v[14:15]
	v_div_scale_f64 v[14:15], vcc, s[14:15], v[12:13], s[14:15]
	v_mul_f64 v[16:17], v[14:15], v[10:11]
	v_fma_f64 v[4:5], -v[4:5], v[16:17], v[14:15]
	v_mov_b32_e32 v14, 0xcf8c9ee1
	s_nop 0
	v_div_fmas_f64 v[4:5], v[4:5], v[10:11], v[16:17]
	v_div_fixup_f64 v[4:5], v[4:5], v[12:13], s[14:15]
	s_mov_b32 s14, 0xcf8c9ee1
	v_add_f64 v[4:5], v[4:5], -2.0
	v_mov_b32_e32 v10, 0x93812603
	v_mov_b32_e32 v11, 0xbc72fecc
	s_mov_b32 s15, 0x3c5871a5
	v_fmac_f64_e32 v[10:11], s[14:15], v[4:5]
	v_mov_b32_e32 v15, 0xbc5871a5
	s_mov_b32 s14, 0x41a8cdf4
	v_fmac_f64_e32 v[14:15], v[4:5], v[10:11]
	s_mov_b32 s15, 0x3c8e092e
	v_add_f64 v[14:15], v[14:15], s[14:15]
	s_mov_b32 s14, 0x74d77641
	v_fma_f64 v[10:11], v[4:5], v[14:15], -v[10:11]
	s_mov_b32 s15, 0xbca82f94
	v_add_f64 v[10:11], v[10:11], s[14:15]
	s_mov_b32 s14, 0x6b94785b
	v_fma_f64 v[14:15], v[4:5], v[10:11], -v[14:15]
	;; [unrolled: 4-line block ×21, first 2 shown]
	s_mov_b32 s15, 0xbfa019f7
	v_add_f64 v[10:11], v[10:11], s[14:15]
	v_cmp_gt_f64_e32 vcc, s[20:21], v[12:13]
	v_fma_f64 v[4:5], v[4:5], v[10:11], -v[14:15]
	v_cndmask_b32_e64 v10, 0, 1, vcc
	v_lshlrev_b32_e32 v10, 8, v10
	v_ldexp_f64 v[10:11], v[12:13], v10
	v_rsq_f64_e32 v[12:13], v[10:11]
	s_mov_b32 s14, 0x9f4e6907
	s_mov_b32 s15, 0x400385bd
	v_add_f64 v[4:5], v[4:5], s[14:15]
	v_add_f64 v[4:5], v[4:5], -v[14:15]
	v_mul_f64 v[14:15], v[10:11], v[12:13]
	v_mul_f64 v[12:13], v[12:13], 0.5
	v_fma_f64 v[16:17], -v[12:13], v[14:15], 0.5
	v_fmac_f64_e32 v[14:15], v[14:15], v[16:17]
	v_fma_f64 v[18:19], -v[14:15], v[14:15], v[10:11]
	v_fmac_f64_e32 v[12:13], v[12:13], v[16:17]
	v_fmac_f64_e32 v[14:15], v[18:19], v[12:13]
	v_fma_f64 v[16:17], -v[14:15], v[14:15], v[10:11]
	v_fmac_f64_e32 v[14:15], v[16:17], v[12:13]
	v_mov_b32_e32 v12, 0xffffff80
	v_cndmask_b32_e32 v12, 0, v12, vcc
	v_ldexp_f64 v[12:13], v[14:15], v12
	v_mov_b32_e32 v14, 0x260
	v_cmp_class_f64_e32 vcc, v[10:11], v14
	v_mul_f64 v[4:5], v[4:5], 0.5
	v_cndmask_b32_e32 v11, v13, v11, vcc
	v_cndmask_b32_e32 v10, v12, v10, vcc
	v_div_scale_f64 v[12:13], s[14:15], v[10:11], v[10:11], v[4:5]
	v_rcp_f64_e32 v[14:15], v[12:13]
	v_fma_f64 v[16:17], -v[12:13], v[14:15], 1.0
	v_fmac_f64_e32 v[14:15], v[14:15], v[16:17]
	v_fma_f64 v[16:17], -v[12:13], v[14:15], 1.0
	v_fmac_f64_e32 v[14:15], v[14:15], v[16:17]
	v_div_scale_f64 v[16:17], vcc, v[4:5], v[10:11], v[4:5]
	v_mul_f64 v[18:19], v[16:17], v[14:15]
	v_fma_f64 v[12:13], -v[12:13], v[18:19], v[16:17]
	s_nop 1
	v_div_fmas_f64 v[12:13], v[12:13], v[14:15], v[18:19]
	v_div_fixup_f64 v[4:5], v[12:13], v[10:11], v[4:5]
.LBB5_25:
	s_or_b64 exec, exec, s[12:13]
.LBB5_26:
	s_or_b64 exec, exec, s[10:11]
.LBB5_27:
	s_or_b64 exec, exec, s[6:7]
	v_mov_b32_e32 v12, 0
	v_mov_b32_e32 v13, 0x7ff00000
	s_waitcnt vmcnt(0)
	v_cmp_neq_f64_e32 vcc, 0, v[6:7]
	v_pk_mov_b32 v[10:11], v[12:13], v[12:13] op_sel:[0,1]
	s_and_saveexec_b64 s[6:7], vcc
	s_cbranch_execz .LBB5_39
; %bb.28:
	v_mov_b32_e32 v10, 0
	v_cmp_ngt_f64_e32 vcc, 0, v[6:7]
	v_mov_b32_e32 v11, 0x7ff80000
	s_and_saveexec_b64 s[10:11], vcc
	s_cbranch_execz .LBB5_38
; %bb.29:
	v_cmp_ge_f64_e32 vcc, 2.0, v[6:7]
	s_and_saveexec_b64 s[12:13], vcc
	s_xor_b64 s[12:13], exec, s[12:13]
	s_cbranch_execz .LBB5_35
; %bb.30:
	s_mov_b32 s14, 0
	s_mov_b32 s15, 0x40200000
	v_mul_f64 v[10:11], v[6:7], 0.5
	v_cmp_ge_f64_e32 vcc, s[14:15], v[6:7]
                                        ; implicit-def: $vgpr16_vgpr17
                                        ; implicit-def: $vgpr14_vgpr15
	s_and_saveexec_b64 s[14:15], vcc
	s_xor_b64 s[14:15], exec, s[14:15]
	s_cbranch_execz .LBB5_32
; %bb.31:
	s_mov_b32 s20, 0x2134d0ef
	v_add_f64 v[14:15], v[10:11], -2.0
	v_mov_b32_e32 v16, 0x977da589
	v_mov_b32_e32 v17, 0x3c833362
	s_mov_b32 s21, 0xbc545cb7
	v_fmac_f64_e32 v[16:17], s[20:21], v[14:15]
	v_mov_b32_e32 v18, 0x2134d0ef
	v_mov_b32_e32 v19, 0x3c545cb7
	s_mov_b32 s20, 0x721ebbb4
	v_fmac_f64_e32 v[18:19], v[14:15], v[16:17]
	s_mov_b32 s21, 0xbcb184eb
	v_add_f64 v[18:19], v[18:19], s[20:21]
	s_mov_b32 s20, 0x93f65eba
	v_fma_f64 v[16:17], v[14:15], v[18:19], -v[16:17]
	s_mov_b32 s21, 0x3cdee6d8
	v_add_f64 v[16:17], v[16:17], s[20:21]
	s_mov_b32 s20, 0xc297fbeb
	v_fma_f64 v[18:19], v[14:15], v[16:17], -v[18:19]
	;; [unrolled: 4-line block ×27, first 2 shown]
	s_mov_b32 s21, 0x3fe5a84e
	v_add_f64 v[18:19], v[14:15], s[20:21]
	s_mov_b32 s20, 0x652b82fe
	s_mov_b32 s21, 0x3ff71547
	v_mul_f64 v[14:15], v[6:7], s[20:21]
	s_mov_b32 s20, 0xfefa39ef
	v_rndne_f64_e32 v[14:15], v[14:15]
	s_mov_b32 s21, 0xbfe62e42
	v_fma_f64 v[20:21], s[20:21], v[14:15], v[6:7]
	s_mov_b32 s20, 0x3b39803f
	s_mov_b32 s21, 0xbc7abc9e
	v_fmac_f64_e32 v[20:21], s[20:21], v[14:15]
	s_mov_b32 s20, 0x6a5dcb37
	v_mov_b32_e32 v22, 0xfca7ab0c
	v_mov_b32_e32 v23, 0x3e928af3
	s_mov_b32 s21, 0x3e5ade15
	v_fmac_f64_e32 v[22:23], s[20:21], v[20:21]
	v_mov_b32_e32 v24, 0x623fde64
	v_mov_b32_e32 v25, 0x3ec71dee
	v_fmac_f64_e32 v[24:25], v[20:21], v[22:23]
	v_mov_b32_e32 v22, 0x7c89e6b0
	v_mov_b32_e32 v23, 0x3efa0199
	;; [unrolled: 3-line block ×8, first 2 shown]
	v_fmac_f64_e32 v[22:23], v[20:21], v[24:25]
	v_fma_f64 v[22:23], v[20:21], v[22:23], 1.0
	s_mov_b32 s20, 0
	v_fma_f64 v[20:21], v[20:21], v[22:23], 1.0
	v_cvt_i32_f64_e32 v14, v[14:15]
	s_mov_b32 s21, 0x40900000
	v_ldexp_f64 v[14:15], v[20:21], v14
	v_mov_b32_e32 v20, 0x7ff00000
	v_cmp_nlt_f64_e32 vcc, s[20:21], v[6:7]
	v_add_f64 v[16:17], v[18:19], -v[16:17]
	v_cndmask_b32_e32 v15, v20, v15, vcc
	v_cndmask_b32_e32 v14, 0, v14, vcc
	v_mul_f64 v[16:17], v[16:17], 0.5
	v_mul_f64 v[16:17], v[14:15], v[16:17]
.LBB5_32:
	s_andn2_saveexec_b64 s[14:15], s[14:15]
	s_cbranch_execz .LBB5_34
; %bb.33:
	s_mov_b32 s20, 0
	s_mov_b32 s21, 0x40400000
	v_div_scale_f64 v[14:15], s[22:23], v[6:7], v[6:7], s[20:21]
	v_rcp_f64_e32 v[16:17], v[14:15]
	v_mov_b32_e32 v22, 0xfca7ab0c
	v_mov_b32_e32 v23, 0x3e928af3
	;; [unrolled: 1-line block ×3, first 2 shown]
	v_fma_f64 v[18:19], -v[14:15], v[16:17], 1.0
	v_fmac_f64_e32 v[16:17], v[16:17], v[18:19]
	v_fma_f64 v[18:19], -v[14:15], v[16:17], 1.0
	v_fmac_f64_e32 v[16:17], v[16:17], v[18:19]
	v_div_scale_f64 v[18:19], vcc, s[20:21], v[6:7], s[20:21]
	v_mul_f64 v[20:21], v[18:19], v[16:17]
	v_fma_f64 v[14:15], -v[14:15], v[20:21], v[18:19]
	v_mov_b32_e32 v18, 0x54ca8b19
	s_nop 0
	v_div_fmas_f64 v[14:15], v[14:15], v[16:17], v[20:21]
	v_div_fixup_f64 v[14:15], v[14:15], v[6:7], s[20:21]
	s_mov_b32 s20, 0x54ca8b19
	v_add_f64 v[14:15], v[14:15], -2.0
	v_mov_b32_e32 v16, 0x66119130
	v_mov_b32_e32 v17, 0xbc5646da
	s_mov_b32 s21, 0xbc60adb7
	v_fmac_f64_e32 v[16:17], s[20:21], v[14:15]
	v_mov_b32_e32 v19, 0x3c60adb7
	s_mov_b32 s20, 0x12d98421
	v_fmac_f64_e32 v[18:19], v[14:15], v[16:17]
	s_mov_b32 s21, 0x3c89be18
	v_add_f64 v[18:19], v[18:19], s[20:21]
	s_mov_b32 s20, 0x76041cd
	v_fma_f64 v[16:17], v[14:15], v[18:19], -v[16:17]
	s_mov_b32 s21, 0x3c83f3dd
	v_add_f64 v[16:17], v[16:17], s[20:21]
	s_mov_b32 s20, 0xabd21fe4
	v_fma_f64 v[18:19], v[14:15], v[16:17], -v[18:19]
	s_mov_b32 s21, 0xbcb4600b
	v_add_f64 v[18:19], v[18:19], s[20:21]
	s_mov_b32 s20, 0xd908de38
	v_fma_f64 v[16:17], v[14:15], v[18:19], -v[16:17]
	s_mov_b32 s21, 0xbcb8aee7
	v_add_f64 v[16:17], v[16:17], s[20:21]
	s_mov_b32 s20, 0xa3eafb1f
	v_fma_f64 v[18:19], v[14:15], v[16:17], -v[18:19]
	s_mov_b32 s21, 0x3cdfee7d
	v_add_f64 v[18:19], v[18:19], s[20:21]
	s_mov_b32 s20, 0x9094e6d7
	v_fma_f64 v[16:17], v[14:15], v[18:19], -v[16:17]
	s_mov_b32 s21, 0x3cf12a91
	v_add_f64 v[16:17], v[16:17], s[20:21]
	s_mov_b32 s20, 0x7e65629a
	v_fma_f64 v[18:19], v[14:15], v[16:17], -v[18:19]
	s_mov_b32 s21, 0xbd0583fe
	v_add_f64 v[18:19], v[18:19], s[20:21]
	s_mov_b32 s20, 0xcf68bb32
	v_fma_f64 v[16:17], v[14:15], v[18:19], -v[16:17]
	s_mov_b32 s21, 0xbd275d99
	v_add_f64 v[16:17], v[16:17], s[20:21]
	s_mov_b32 s20, 0xd5fc545
	v_fma_f64 v[18:19], v[14:15], v[16:17], -v[18:19]
	s_mov_b32 s21, 0x3d1156ff
	v_add_f64 v[18:19], v[18:19], s[20:21]
	s_mov_b32 s20, 0x6b83c073
	v_fma_f64 v[16:17], v[14:15], v[18:19], -v[16:17]
	s_mov_b32 s21, 0x3d5b1c8c
	v_add_f64 v[16:17], v[16:17], s[20:21]
	s_mov_b32 s20, 0xfa268cec
	v_fma_f64 v[18:19], v[14:15], v[16:17], -v[18:19]
	s_mov_b32 s21, 0x3d694347
	v_add_f64 v[18:19], v[18:19], s[20:21]
	s_mov_b32 s20, 0x3178d66
	v_fma_f64 v[16:17], v[14:15], v[18:19], -v[16:17]
	s_mov_b32 s21, 0xbd7f9043
	v_add_f64 v[16:17], v[16:17], s[20:21]
	s_mov_b32 s20, 0x357e7bf2
	v_fma_f64 v[18:19], v[14:15], v[16:17], -v[18:19]
	s_mov_b32 s21, 0xbdad0fd7
	v_add_f64 v[18:19], v[18:19], s[20:21]
	s_mov_b32 s20, 0x8397425
	v_fma_f64 v[16:17], v[14:15], v[18:19], -v[16:17]
	s_mov_b32 s21, 0xbdc1511d
	v_add_f64 v[16:17], v[16:17], s[20:21]
	s_mov_b32 s20, 0xabe8004f
	v_fma_f64 v[18:19], v[14:15], v[16:17], -v[18:19]
	s_mov_b32 s21, 0x3daa24fe
	v_add_f64 v[18:19], v[18:19], s[20:21]
	s_mov_b32 s20, 0xc0f46f75
	v_fma_f64 v[16:17], v[14:15], v[18:19], -v[16:17]
	s_mov_b32 s21, 0x3e00f9cc
	v_add_f64 v[16:17], v[16:17], s[20:21]
	s_mov_b32 s20, 0xa9225b87
	v_fma_f64 v[18:19], v[14:15], v[16:17], -v[18:19]
	s_mov_b32 s21, 0x3e2d2c64
	v_add_f64 v[18:19], v[18:19], s[20:21]
	s_mov_b32 s20, 0x80d6d56d
	v_fma_f64 v[16:17], v[14:15], v[18:19], -v[16:17]
	s_mov_b32 s21, 0x3e585692
	v_add_f64 v[16:17], v[16:17], s[20:21]
	s_mov_b32 s20, 0xd9cd616e
	v_fma_f64 v[18:19], v[14:15], v[16:17], -v[18:19]
	s_mov_b32 s21, 0x3e8b8007
	v_add_f64 v[18:19], v[18:19], s[20:21]
	s_mov_b32 s20, 0xc101c586
	v_fma_f64 v[16:17], v[14:15], v[18:19], -v[16:17]
	s_mov_b32 s21, 0x3ec8412b
	v_add_f64 v[16:17], v[16:17], s[20:21]
	s_mov_b32 s20, 0x78999e52
	v_fma_f64 v[18:19], v[14:15], v[16:17], -v[18:19]
	s_mov_b32 s21, 0x3f120fa3
	v_add_f64 v[18:19], v[18:19], s[20:21]
	s_mov_b32 s20, 0xa2e59049
	v_fma_f64 v[16:17], v[14:15], v[18:19], -v[16:17]
	s_mov_b32 s21, 0x3f6b998c
	v_add_f64 v[16:17], v[16:17], s[20:21]
	s_mov_b32 s20, 0xaca809cb
	v_fma_f64 v[14:15], v[14:15], v[16:17], -v[18:19]
	s_mov_b32 s21, 0x3fe9be62
	v_add_f64 v[16:17], v[14:15], s[20:21]
	s_mov_b32 s20, 0x652b82fe
	s_mov_b32 s21, 0x3ff71547
	v_mul_f64 v[14:15], v[6:7], s[20:21]
	s_mov_b32 s20, 0xfefa39ef
	v_rndne_f64_e32 v[14:15], v[14:15]
	s_mov_b32 s21, 0xbfe62e42
	v_fma_f64 v[20:21], s[20:21], v[14:15], v[6:7]
	s_mov_b32 s20, 0x3b39803f
	s_mov_b32 s21, 0xbc7abc9e
	v_fmac_f64_e32 v[20:21], s[20:21], v[14:15]
	s_mov_b32 s20, 0x6a5dcb37
	s_mov_b32 s21, 0x3e5ade15
	v_fmac_f64_e32 v[22:23], s[20:21], v[20:21]
	v_mov_b32_e32 v25, 0x3ec71dee
	v_fmac_f64_e32 v[24:25], v[20:21], v[22:23]
	v_mov_b32_e32 v22, 0x7c89e6b0
	v_mov_b32_e32 v23, 0x3efa0199
	v_fmac_f64_e32 v[22:23], v[20:21], v[24:25]
	v_mov_b32_e32 v24, 0x14761f6e
	v_mov_b32_e32 v25, 0x3f2a01a0
	v_fmac_f64_e32 v[24:25], v[20:21], v[22:23]
	v_mov_b32_e32 v22, 0x1852b7b0
	v_mov_b32_e32 v23, 0x3f56c16c
	v_fmac_f64_e32 v[22:23], v[20:21], v[24:25]
	v_mov_b32_e32 v24, 0x11122322
	v_mov_b32_e32 v25, 0x3f811111
	v_fmac_f64_e32 v[24:25], v[20:21], v[22:23]
	v_mov_b32_e32 v22, 0x555502a1
	v_mov_b32_e32 v23, 0x3fa55555
	v_fmac_f64_e32 v[22:23], v[20:21], v[24:25]
	v_mov_b32_e32 v24, 0x55555511
	v_mov_b32_e32 v25, 0x3fc55555
	v_fmac_f64_e32 v[24:25], v[20:21], v[22:23]
	v_mov_b32_e32 v22, 11
	v_mov_b32_e32 v23, 0x3fe00000
	v_fmac_f64_e32 v[22:23], v[20:21], v[24:25]
	s_mov_b32 s20, 0
	v_fma_f64 v[22:23], v[20:21], v[22:23], 1.0
	s_mov_b32 s21, 0x40900000
	v_fma_f64 v[20:21], v[20:21], v[22:23], 1.0
	v_cvt_i32_f64_e32 v14, v[14:15]
	v_cmp_nlt_f64_e32 vcc, s[20:21], v[6:7]
	s_mov_b32 s20, 0
	v_ldexp_f64 v[14:15], v[20:21], v14
	v_mov_b32_e32 v20, 0x7ff00000
	s_brev_b32 s21, 8
	v_cndmask_b32_e32 v15, v20, v15, vcc
	v_cndmask_b32_e32 v14, 0, v14, vcc
	v_cmp_gt_f64_e32 vcc, s[20:21], v[6:7]
	v_cndmask_b32_e64 v20, 0, 1, vcc
	v_lshlrev_b32_e32 v20, 8, v20
	v_ldexp_f64 v[20:21], v[6:7], v20
	v_rsq_f64_e32 v[22:23], v[20:21]
	v_add_f64 v[16:17], v[16:17], -v[18:19]
	v_mul_f64 v[16:17], v[16:17], 0.5
	v_mul_f64 v[16:17], v[14:15], v[16:17]
	v_mul_f64 v[18:19], v[20:21], v[22:23]
	v_mul_f64 v[22:23], v[22:23], 0.5
	v_fma_f64 v[24:25], -v[22:23], v[18:19], 0.5
	v_fmac_f64_e32 v[18:19], v[18:19], v[24:25]
	v_fma_f64 v[26:27], -v[18:19], v[18:19], v[20:21]
	v_fmac_f64_e32 v[22:23], v[22:23], v[24:25]
	v_fmac_f64_e32 v[18:19], v[26:27], v[22:23]
	v_fma_f64 v[24:25], -v[18:19], v[18:19], v[20:21]
	v_fmac_f64_e32 v[18:19], v[24:25], v[22:23]
	v_mov_b32_e32 v22, 0xffffff80
	v_cndmask_b32_e32 v22, 0, v22, vcc
	v_ldexp_f64 v[18:19], v[18:19], v22
	v_mov_b32_e32 v22, 0x260
	v_cmp_class_f64_e32 vcc, v[20:21], v22
	v_cndmask_b32_e32 v19, v19, v21, vcc
	v_cndmask_b32_e32 v18, v18, v20, vcc
	v_div_scale_f64 v[20:21], s[20:21], v[18:19], v[18:19], v[16:17]
	v_rcp_f64_e32 v[22:23], v[20:21]
	v_fma_f64 v[24:25], -v[20:21], v[22:23], 1.0
	v_fmac_f64_e32 v[22:23], v[22:23], v[24:25]
	v_fma_f64 v[24:25], -v[20:21], v[22:23], 1.0
	v_fmac_f64_e32 v[22:23], v[22:23], v[24:25]
	v_div_scale_f64 v[24:25], vcc, v[16:17], v[18:19], v[16:17]
	v_mul_f64 v[26:27], v[24:25], v[22:23]
	v_fma_f64 v[20:21], -v[20:21], v[26:27], v[24:25]
	s_nop 1
	v_div_fmas_f64 v[20:21], v[20:21], v[22:23], v[26:27]
	v_div_fixup_f64 v[16:17], v[20:21], v[18:19], v[16:17]
.LBB5_34:
	s_or_b64 exec, exec, s[14:15]
	s_mov_b32 s14, 0xe6a7fd77
	v_fma_f64 v[6:7], v[6:7], v[6:7], -2.0
	v_mov_b32_e32 v18, 0xc384c2aa
	v_mov_b32_e32 v19, 0x3d27fb0a
	s_mov_b32 s15, 0x3ca3cee1
	v_fmac_f64_e32 v[18:19], s[14:15], v[6:7]
	v_mov_b32_e32 v20, 0xe6a7fd77
	v_mov_b32_e32 v21, 0xbca3cee1
	s_mov_b32 s14, 0x47512144
	v_fmac_f64_e32 v[20:21], v[6:7], v[18:19]
	s_mov_b32 s15, 0x3da6c25c
	v_add_f64 v[20:21], v[20:21], s[14:15]
	s_mov_b32 s14, 0x67e58a13
	v_fma_f64 v[18:19], v[6:7], v[20:21], -v[18:19]
	s_mov_b32 s15, 0x3e205c13
	v_add_f64 v[18:19], v[18:19], s[14:15]
	s_mov_b32 s14, 0xe7f95efc
	v_fma_f64 v[20:21], v[6:7], v[18:19], -v[20:21]
	;; [unrolled: 4-line block ×7, first 2 shown]
	s_mov_b32 s15, 0xbfe12166
	v_add_f64 v[6:7], v[6:7], s[14:15]
	s_mov_b32 s14, 0x55555555
	v_add_f64 v[6:7], v[6:7], -v[18:19]
	v_frexp_mant_f64_e32 v[18:19], v[10:11]
	s_mov_b32 s15, 0x3fe55555
	v_mov_b32_e32 v20, 0x3ff00000
	v_cmp_gt_f64_e32 vcc, s[14:15], v[18:19]
	v_cndmask_b32_e64 v21, v20, 2.0, vcc
	v_mov_b32_e32 v20, 0
	v_mul_f64 v[18:19], v[18:19], v[20:21]
	v_frexp_exp_i32_f64_e32 v22, v[10:11]
	v_add_f64 v[20:21], v[18:19], 1.0
	v_subbrev_co_u32_e32 v32, vcc, 0, v22, vcc
	v_rcp_f64_e32 v[22:23], v[20:21]
	v_add_f64 v[26:27], v[20:21], -1.0
	v_add_f64 v[24:25], v[18:19], -1.0
	v_add_f64 v[18:19], v[18:19], -v[26:27]
	v_fma_f64 v[26:27], -v[20:21], v[22:23], 1.0
	v_fmac_f64_e32 v[22:23], v[26:27], v[22:23]
	v_fma_f64 v[26:27], -v[20:21], v[22:23], 1.0
	v_fmac_f64_e32 v[22:23], v[26:27], v[22:23]
	v_mul_f64 v[26:27], v[24:25], v[22:23]
	v_mul_f64 v[28:29], v[20:21], v[26:27]
	v_fma_f64 v[20:21], v[26:27], v[20:21], -v[28:29]
	v_fmac_f64_e32 v[20:21], v[26:27], v[18:19]
	v_add_f64 v[18:19], v[28:29], v[20:21]
	v_add_f64 v[30:31], v[24:25], -v[18:19]
	v_add_f64 v[28:29], v[18:19], -v[28:29]
	;; [unrolled: 1-line block ×5, first 2 shown]
	v_add_f64 v[18:19], v[20:21], v[18:19]
	v_add_f64 v[18:19], v[30:31], v[18:19]
	v_mul_f64 v[18:19], v[22:23], v[18:19]
	v_add_f64 v[20:21], v[26:27], v[18:19]
	v_add_f64 v[22:23], v[20:21], -v[26:27]
	s_mov_b32 s14, 0xbf559e2b
	v_add_f64 v[18:19], v[18:19], -v[22:23]
	v_mul_f64 v[22:23], v[20:21], v[20:21]
	v_mov_b32_e32 v24, 0x6b47b09a
	v_mov_b32_e32 v25, 0x3fc38538
	s_mov_b32 s15, 0x3fc3ab76
	v_fmac_f64_e32 v[24:25], s[14:15], v[22:23]
	v_mov_b32_e32 v26, 0xd7f4df2e
	v_mov_b32_e32 v27, 0x3fc7474d
	v_fmac_f64_e32 v[26:27], v[22:23], v[24:25]
	v_mov_b32_e32 v24, 0x16291751
	v_mov_b32_e32 v25, 0x3fcc71c0
	;; [unrolled: 3-line block ×5, first 2 shown]
	v_fmac_f64_e32 v[26:27], v[22:23], v[24:25]
	v_ldexp_f64 v[24:25], v[20:21], 1
	v_mul_f64 v[20:21], v[20:21], v[22:23]
	v_mul_f64 v[20:21], v[20:21], v[26:27]
	v_add_f64 v[22:23], v[24:25], v[20:21]
	v_add_f64 v[24:25], v[22:23], -v[24:25]
	v_ldexp_f64 v[18:19], v[18:19], 1
	v_add_f64 v[20:21], v[20:21], -v[24:25]
	v_add_f64 v[18:19], v[18:19], v[20:21]
	v_add_f64 v[20:21], v[22:23], v[18:19]
	v_add_f64 v[22:23], v[20:21], -v[22:23]
	s_mov_b32 s14, 0xfefa39ef
	v_add_f64 v[18:19], v[18:19], -v[22:23]
	v_cvt_f64_i32_e32 v[22:23], v32
	s_mov_b32 s15, 0x3fe62e42
	v_mul_f64 v[24:25], v[22:23], s[14:15]
	v_fma_f64 v[26:27], v[22:23], s[14:15], -v[24:25]
	s_mov_b32 s14, 0x3b39803f
	s_mov_b32 s15, 0x3c7abc9e
	v_fmac_f64_e32 v[26:27], s[14:15], v[22:23]
	v_add_f64 v[22:23], v[24:25], v[26:27]
	v_add_f64 v[24:25], v[22:23], -v[24:25]
	v_add_f64 v[24:25], v[26:27], -v[24:25]
	v_add_f64 v[26:27], v[22:23], v[20:21]
	v_add_f64 v[28:29], v[26:27], -v[22:23]
	v_add_f64 v[30:31], v[26:27], -v[28:29]
	;; [unrolled: 1-line block ×4, first 2 shown]
	v_add_f64 v[20:21], v[20:21], v[22:23]
	v_add_f64 v[22:23], v[24:25], v[18:19]
	v_add_f64 v[28:29], v[22:23], -v[24:25]
	v_add_f64 v[30:31], v[22:23], -v[28:29]
	v_add_f64 v[20:21], v[22:23], v[20:21]
	v_add_f64 v[24:25], v[24:25], -v[30:31]
	v_add_f64 v[18:19], v[18:19], -v[28:29]
	v_add_f64 v[22:23], v[26:27], v[20:21]
	v_add_f64 v[18:19], v[18:19], v[24:25]
	v_add_f64 v[24:25], v[22:23], -v[26:27]
	v_add_f64 v[20:21], v[20:21], -v[24:25]
	s_mov_b32 s14, 0
	v_add_f64 v[18:19], v[18:19], v[20:21]
	s_mov_b32 s15, 0x7ff00000
	v_add_f64 v[18:19], v[22:23], v[18:19]
	v_cmp_eq_f64_e32 vcc, s[14:15], v[10:11]
	v_cndmask_b32_e32 v18, v18, v10, vcc
	v_cndmask_b32_e32 v19, v19, v11, vcc
	v_mov_b32_e32 v20, 0xfff00000
	v_cmp_neq_f64_e32 vcc, 0, v[10:11]
	v_cndmask_b32_e32 v11, v20, v19, vcc
	v_cndmask_b32_e32 v10, 0, v18, vcc
	v_mul_f64 v[10:11], v[10:11], v[16:17]
	v_fma_f64 v[6:7], v[6:7], 0.5, -v[10:11]
	v_mul_f64 v[10:11], v[14:15], v[6:7]
.LBB5_35:
	s_andn2_saveexec_b64 s[12:13], s[12:13]
	s_cbranch_execz .LBB5_37
; %bb.36:
	s_mov_b32 s14, 0
	s_mov_b32 s15, 0x40200000
	v_div_scale_f64 v[10:11], s[20:21], v[6:7], v[6:7], s[14:15]
	v_rcp_f64_e32 v[14:15], v[10:11]
	s_mov_b32 s20, 0
	s_brev_b32 s21, 8
	v_fma_f64 v[16:17], -v[10:11], v[14:15], 1.0
	v_fmac_f64_e32 v[14:15], v[14:15], v[16:17]
	v_fma_f64 v[16:17], -v[10:11], v[14:15], 1.0
	v_fmac_f64_e32 v[14:15], v[14:15], v[16:17]
	v_div_scale_f64 v[16:17], vcc, s[14:15], v[6:7], s[14:15]
	v_mul_f64 v[18:19], v[16:17], v[14:15]
	v_fma_f64 v[10:11], -v[10:11], v[18:19], v[16:17]
	v_mov_b32_e32 v16, 0xcf8c9ee1
	s_nop 0
	v_div_fmas_f64 v[10:11], v[10:11], v[14:15], v[18:19]
	v_div_fixup_f64 v[10:11], v[10:11], v[6:7], s[14:15]
	s_mov_b32 s14, 0xcf8c9ee1
	v_add_f64 v[10:11], v[10:11], -2.0
	v_mov_b32_e32 v14, 0x93812603
	v_mov_b32_e32 v15, 0xbc72fecc
	s_mov_b32 s15, 0x3c5871a5
	v_fmac_f64_e32 v[14:15], s[14:15], v[10:11]
	v_mov_b32_e32 v17, 0xbc5871a5
	s_mov_b32 s14, 0x41a8cdf4
	v_fmac_f64_e32 v[16:17], v[10:11], v[14:15]
	s_mov_b32 s15, 0x3c8e092e
	v_add_f64 v[16:17], v[16:17], s[14:15]
	s_mov_b32 s14, 0x74d77641
	v_fma_f64 v[14:15], v[10:11], v[16:17], -v[14:15]
	s_mov_b32 s15, 0xbca82f94
	v_add_f64 v[14:15], v[14:15], s[14:15]
	s_mov_b32 s14, 0x6b94785b
	v_fma_f64 v[16:17], v[10:11], v[14:15], -v[16:17]
	;; [unrolled: 4-line block ×21, first 2 shown]
	s_mov_b32 s15, 0xbfa019f7
	v_add_f64 v[14:15], v[14:15], s[14:15]
	v_cmp_gt_f64_e32 vcc, s[20:21], v[6:7]
	v_fma_f64 v[10:11], v[10:11], v[14:15], -v[16:17]
	v_cndmask_b32_e64 v14, 0, 1, vcc
	v_lshlrev_b32_e32 v14, 8, v14
	v_ldexp_f64 v[6:7], v[6:7], v14
	v_rsq_f64_e32 v[14:15], v[6:7]
	s_mov_b32 s14, 0x9f4e6907
	s_mov_b32 s15, 0x400385bd
	v_add_f64 v[10:11], v[10:11], s[14:15]
	v_add_f64 v[10:11], v[10:11], -v[16:17]
	v_mul_f64 v[16:17], v[6:7], v[14:15]
	v_mul_f64 v[14:15], v[14:15], 0.5
	v_fma_f64 v[18:19], -v[14:15], v[16:17], 0.5
	v_fmac_f64_e32 v[16:17], v[16:17], v[18:19]
	v_fma_f64 v[20:21], -v[16:17], v[16:17], v[6:7]
	v_fmac_f64_e32 v[14:15], v[14:15], v[18:19]
	v_fmac_f64_e32 v[16:17], v[20:21], v[14:15]
	v_fma_f64 v[18:19], -v[16:17], v[16:17], v[6:7]
	v_fmac_f64_e32 v[16:17], v[18:19], v[14:15]
	v_mov_b32_e32 v14, 0xffffff80
	v_cndmask_b32_e32 v14, 0, v14, vcc
	v_ldexp_f64 v[14:15], v[16:17], v14
	v_mov_b32_e32 v16, 0x260
	v_cmp_class_f64_e32 vcc, v[6:7], v16
	v_mul_f64 v[10:11], v[10:11], 0.5
	v_cndmask_b32_e32 v7, v15, v7, vcc
	v_cndmask_b32_e32 v6, v14, v6, vcc
	v_div_scale_f64 v[14:15], s[14:15], v[6:7], v[6:7], v[10:11]
	v_rcp_f64_e32 v[16:17], v[14:15]
	v_fma_f64 v[18:19], -v[14:15], v[16:17], 1.0
	v_fmac_f64_e32 v[16:17], v[16:17], v[18:19]
	v_fma_f64 v[18:19], -v[14:15], v[16:17], 1.0
	v_fmac_f64_e32 v[16:17], v[16:17], v[18:19]
	v_div_scale_f64 v[18:19], vcc, v[10:11], v[6:7], v[10:11]
	v_mul_f64 v[20:21], v[18:19], v[16:17]
	v_fma_f64 v[14:15], -v[14:15], v[20:21], v[18:19]
	s_nop 1
	v_div_fmas_f64 v[14:15], v[14:15], v[16:17], v[20:21]
	v_div_fixup_f64 v[10:11], v[14:15], v[6:7], v[10:11]
.LBB5_37:
	s_or_b64 exec, exec, s[12:13]
.LBB5_38:
	s_or_b64 exec, exec, s[10:11]
.LBB5_39:
	s_or_b64 exec, exec, s[6:7]
	s_mov_b64 s[6:7], 0
	v_cmp_neq_f64_e32 vcc, 0, v[8:9]
	s_and_saveexec_b64 s[10:11], vcc
	s_cbranch_execz .LBB5_51
; %bb.40:
	v_mov_b32_e32 v12, 0
	v_cmp_ngt_f64_e32 vcc, 0, v[8:9]
	v_mov_b32_e32 v13, 0x7ff80000
	s_and_saveexec_b64 s[12:13], vcc
	s_cbranch_execz .LBB5_50
; %bb.41:
	v_cmp_ge_f64_e32 vcc, 2.0, v[8:9]
	s_and_saveexec_b64 s[14:15], vcc
	s_xor_b64 s[14:15], exec, s[14:15]
	s_cbranch_execz .LBB5_47
; %bb.42:
	s_mov_b32 s20, 0
	s_mov_b32 s21, 0x40200000
	v_mul_f64 v[6:7], v[8:9], 0.5
	v_cmp_ge_f64_e32 vcc, s[20:21], v[8:9]
                                        ; implicit-def: $vgpr14_vgpr15
                                        ; implicit-def: $vgpr12_vgpr13
	s_and_saveexec_b64 s[20:21], vcc
	s_xor_b64 s[20:21], exec, s[20:21]
	s_cbranch_execz .LBB5_44
; %bb.43:
	s_mov_b32 s22, 0x2134d0ef
	v_add_f64 v[12:13], v[6:7], -2.0
	v_mov_b32_e32 v14, 0x977da589
	v_mov_b32_e32 v15, 0x3c833362
	s_mov_b32 s23, 0xbc545cb7
	v_fmac_f64_e32 v[14:15], s[22:23], v[12:13]
	v_mov_b32_e32 v16, 0x2134d0ef
	v_mov_b32_e32 v17, 0x3c545cb7
	s_mov_b32 s22, 0x721ebbb4
	v_fmac_f64_e32 v[16:17], v[12:13], v[14:15]
	s_mov_b32 s23, 0xbcb184eb
	v_add_f64 v[16:17], v[16:17], s[22:23]
	s_mov_b32 s22, 0x93f65eba
	v_fma_f64 v[14:15], v[12:13], v[16:17], -v[14:15]
	s_mov_b32 s23, 0x3cdee6d8
	v_add_f64 v[14:15], v[14:15], s[22:23]
	s_mov_b32 s22, 0xc297fbeb
	v_fma_f64 v[16:17], v[12:13], v[14:15], -v[16:17]
	;; [unrolled: 4-line block ×27, first 2 shown]
	s_mov_b32 s23, 0x3fe5a84e
	v_add_f64 v[16:17], v[12:13], s[22:23]
	s_mov_b32 s22, 0x652b82fe
	s_mov_b32 s23, 0x3ff71547
	v_mul_f64 v[12:13], v[8:9], s[22:23]
	s_mov_b32 s22, 0xfefa39ef
	v_rndne_f64_e32 v[12:13], v[12:13]
	s_mov_b32 s23, 0xbfe62e42
	v_fma_f64 v[18:19], s[22:23], v[12:13], v[8:9]
	s_mov_b32 s22, 0x3b39803f
	s_mov_b32 s23, 0xbc7abc9e
	v_fmac_f64_e32 v[18:19], s[22:23], v[12:13]
	s_mov_b32 s22, 0x6a5dcb37
	v_mov_b32_e32 v20, 0xfca7ab0c
	v_mov_b32_e32 v21, 0x3e928af3
	s_mov_b32 s23, 0x3e5ade15
	v_fmac_f64_e32 v[20:21], s[22:23], v[18:19]
	v_mov_b32_e32 v22, 0x623fde64
	v_mov_b32_e32 v23, 0x3ec71dee
	v_fmac_f64_e32 v[22:23], v[18:19], v[20:21]
	v_mov_b32_e32 v20, 0x7c89e6b0
	v_mov_b32_e32 v21, 0x3efa0199
	;; [unrolled: 3-line block ×8, first 2 shown]
	v_fmac_f64_e32 v[20:21], v[18:19], v[22:23]
	v_fma_f64 v[20:21], v[18:19], v[20:21], 1.0
	s_mov_b32 s22, 0
	v_fma_f64 v[18:19], v[18:19], v[20:21], 1.0
	v_cvt_i32_f64_e32 v12, v[12:13]
	s_mov_b32 s23, 0x40900000
	v_ldexp_f64 v[12:13], v[18:19], v12
	v_mov_b32_e32 v18, 0x7ff00000
	v_cmp_nlt_f64_e32 vcc, s[22:23], v[8:9]
	v_add_f64 v[14:15], v[16:17], -v[14:15]
	v_cndmask_b32_e32 v13, v18, v13, vcc
	v_cndmask_b32_e32 v12, 0, v12, vcc
	v_mul_f64 v[14:15], v[14:15], 0.5
	v_mul_f64 v[14:15], v[12:13], v[14:15]
.LBB5_44:
	s_andn2_saveexec_b64 s[20:21], s[20:21]
	s_cbranch_execz .LBB5_46
; %bb.45:
	s_mov_b32 s22, 0
	s_mov_b32 s23, 0x40400000
	v_div_scale_f64 v[12:13], s[24:25], v[8:9], v[8:9], s[22:23]
	v_rcp_f64_e32 v[14:15], v[12:13]
	v_mov_b32_e32 v20, 0xfca7ab0c
	v_mov_b32_e32 v21, 0x3e928af3
	;; [unrolled: 1-line block ×3, first 2 shown]
	v_fma_f64 v[16:17], -v[12:13], v[14:15], 1.0
	v_fmac_f64_e32 v[14:15], v[14:15], v[16:17]
	v_fma_f64 v[16:17], -v[12:13], v[14:15], 1.0
	v_fmac_f64_e32 v[14:15], v[14:15], v[16:17]
	v_div_scale_f64 v[16:17], vcc, s[22:23], v[8:9], s[22:23]
	v_mul_f64 v[18:19], v[16:17], v[14:15]
	v_fma_f64 v[12:13], -v[12:13], v[18:19], v[16:17]
	v_mov_b32_e32 v16, 0x54ca8b19
	s_nop 0
	v_div_fmas_f64 v[12:13], v[12:13], v[14:15], v[18:19]
	v_div_fixup_f64 v[12:13], v[12:13], v[8:9], s[22:23]
	s_mov_b32 s22, 0x54ca8b19
	v_add_f64 v[12:13], v[12:13], -2.0
	v_mov_b32_e32 v14, 0x66119130
	v_mov_b32_e32 v15, 0xbc5646da
	s_mov_b32 s23, 0xbc60adb7
	v_fmac_f64_e32 v[14:15], s[22:23], v[12:13]
	v_mov_b32_e32 v17, 0x3c60adb7
	s_mov_b32 s22, 0x12d98421
	v_fmac_f64_e32 v[16:17], v[12:13], v[14:15]
	s_mov_b32 s23, 0x3c89be18
	v_add_f64 v[16:17], v[16:17], s[22:23]
	s_mov_b32 s22, 0x76041cd
	v_fma_f64 v[14:15], v[12:13], v[16:17], -v[14:15]
	s_mov_b32 s23, 0x3c83f3dd
	v_add_f64 v[14:15], v[14:15], s[22:23]
	s_mov_b32 s22, 0xabd21fe4
	v_fma_f64 v[16:17], v[12:13], v[14:15], -v[16:17]
	;; [unrolled: 4-line block ×22, first 2 shown]
	s_mov_b32 s23, 0x3fe9be62
	v_add_f64 v[14:15], v[12:13], s[22:23]
	s_mov_b32 s22, 0x652b82fe
	s_mov_b32 s23, 0x3ff71547
	v_mul_f64 v[12:13], v[8:9], s[22:23]
	s_mov_b32 s22, 0xfefa39ef
	v_rndne_f64_e32 v[12:13], v[12:13]
	s_mov_b32 s23, 0xbfe62e42
	v_fma_f64 v[18:19], s[22:23], v[12:13], v[8:9]
	s_mov_b32 s22, 0x3b39803f
	s_mov_b32 s23, 0xbc7abc9e
	v_fmac_f64_e32 v[18:19], s[22:23], v[12:13]
	s_mov_b32 s22, 0x6a5dcb37
	s_mov_b32 s23, 0x3e5ade15
	v_fmac_f64_e32 v[20:21], s[22:23], v[18:19]
	v_mov_b32_e32 v23, 0x3ec71dee
	v_fmac_f64_e32 v[22:23], v[18:19], v[20:21]
	v_mov_b32_e32 v20, 0x7c89e6b0
	v_mov_b32_e32 v21, 0x3efa0199
	v_fmac_f64_e32 v[20:21], v[18:19], v[22:23]
	v_mov_b32_e32 v22, 0x14761f6e
	;; [unrolled: 3-line block ×7, first 2 shown]
	v_mov_b32_e32 v21, 0x3fe00000
	v_fmac_f64_e32 v[20:21], v[18:19], v[22:23]
	s_mov_b32 s22, 0
	v_fma_f64 v[20:21], v[18:19], v[20:21], 1.0
	s_mov_b32 s23, 0x40900000
	v_fma_f64 v[18:19], v[18:19], v[20:21], 1.0
	v_cvt_i32_f64_e32 v12, v[12:13]
	v_cmp_nlt_f64_e32 vcc, s[22:23], v[8:9]
	s_mov_b32 s22, 0
	v_ldexp_f64 v[12:13], v[18:19], v12
	v_mov_b32_e32 v18, 0x7ff00000
	s_brev_b32 s23, 8
	v_cndmask_b32_e32 v13, v18, v13, vcc
	v_cndmask_b32_e32 v12, 0, v12, vcc
	v_cmp_gt_f64_e32 vcc, s[22:23], v[8:9]
	v_cndmask_b32_e64 v18, 0, 1, vcc
	v_lshlrev_b32_e32 v18, 8, v18
	v_ldexp_f64 v[18:19], v[8:9], v18
	v_rsq_f64_e32 v[20:21], v[18:19]
	v_add_f64 v[14:15], v[14:15], -v[16:17]
	v_mul_f64 v[14:15], v[14:15], 0.5
	v_mul_f64 v[14:15], v[12:13], v[14:15]
	v_mul_f64 v[16:17], v[18:19], v[20:21]
	v_mul_f64 v[20:21], v[20:21], 0.5
	v_fma_f64 v[22:23], -v[20:21], v[16:17], 0.5
	v_fmac_f64_e32 v[16:17], v[16:17], v[22:23]
	v_fma_f64 v[24:25], -v[16:17], v[16:17], v[18:19]
	v_fmac_f64_e32 v[20:21], v[20:21], v[22:23]
	v_fmac_f64_e32 v[16:17], v[24:25], v[20:21]
	v_fma_f64 v[22:23], -v[16:17], v[16:17], v[18:19]
	v_fmac_f64_e32 v[16:17], v[22:23], v[20:21]
	v_mov_b32_e32 v20, 0xffffff80
	v_cndmask_b32_e32 v20, 0, v20, vcc
	v_ldexp_f64 v[16:17], v[16:17], v20
	v_mov_b32_e32 v20, 0x260
	v_cmp_class_f64_e32 vcc, v[18:19], v20
	v_cndmask_b32_e32 v17, v17, v19, vcc
	v_cndmask_b32_e32 v16, v16, v18, vcc
	v_div_scale_f64 v[18:19], s[22:23], v[16:17], v[16:17], v[14:15]
	v_rcp_f64_e32 v[20:21], v[18:19]
	v_fma_f64 v[22:23], -v[18:19], v[20:21], 1.0
	v_fmac_f64_e32 v[20:21], v[20:21], v[22:23]
	v_fma_f64 v[22:23], -v[18:19], v[20:21], 1.0
	v_fmac_f64_e32 v[20:21], v[20:21], v[22:23]
	v_div_scale_f64 v[22:23], vcc, v[14:15], v[16:17], v[14:15]
	v_mul_f64 v[24:25], v[22:23], v[20:21]
	v_fma_f64 v[18:19], -v[18:19], v[24:25], v[22:23]
	s_nop 1
	v_div_fmas_f64 v[18:19], v[18:19], v[20:21], v[24:25]
	v_div_fixup_f64 v[14:15], v[18:19], v[16:17], v[14:15]
.LBB5_46:
	s_or_b64 exec, exec, s[20:21]
	s_mov_b32 s20, 0xe6a7fd77
	v_fma_f64 v[8:9], v[8:9], v[8:9], -2.0
	v_mov_b32_e32 v16, 0xc384c2aa
	v_mov_b32_e32 v17, 0x3d27fb0a
	s_mov_b32 s21, 0x3ca3cee1
	v_fmac_f64_e32 v[16:17], s[20:21], v[8:9]
	v_mov_b32_e32 v18, 0xe6a7fd77
	v_mov_b32_e32 v19, 0xbca3cee1
	s_mov_b32 s20, 0x47512144
	v_fmac_f64_e32 v[18:19], v[8:9], v[16:17]
	s_mov_b32 s21, 0x3da6c25c
	v_add_f64 v[18:19], v[18:19], s[20:21]
	s_mov_b32 s20, 0x67e58a13
	v_fma_f64 v[16:17], v[8:9], v[18:19], -v[16:17]
	s_mov_b32 s21, 0x3e205c13
	v_add_f64 v[16:17], v[16:17], s[20:21]
	s_mov_b32 s20, 0xe7f95efc
	v_fma_f64 v[18:19], v[8:9], v[16:17], -v[18:19]
	;; [unrolled: 4-line block ×7, first 2 shown]
	s_mov_b32 s21, 0xbfe12166
	v_add_f64 v[8:9], v[8:9], s[20:21]
	s_mov_b32 s20, 0x55555555
	v_add_f64 v[8:9], v[8:9], -v[16:17]
	v_frexp_mant_f64_e32 v[16:17], v[6:7]
	s_mov_b32 s21, 0x3fe55555
	v_mov_b32_e32 v18, 0x3ff00000
	v_cmp_gt_f64_e32 vcc, s[20:21], v[16:17]
	v_cndmask_b32_e64 v19, v18, 2.0, vcc
	v_mov_b32_e32 v18, 0
	v_mul_f64 v[16:17], v[16:17], v[18:19]
	v_frexp_exp_i32_f64_e32 v20, v[6:7]
	v_add_f64 v[18:19], v[16:17], 1.0
	v_subbrev_co_u32_e32 v30, vcc, 0, v20, vcc
	v_rcp_f64_e32 v[20:21], v[18:19]
	v_add_f64 v[24:25], v[18:19], -1.0
	v_add_f64 v[22:23], v[16:17], -1.0
	v_add_f64 v[16:17], v[16:17], -v[24:25]
	v_fma_f64 v[24:25], -v[18:19], v[20:21], 1.0
	v_fmac_f64_e32 v[20:21], v[24:25], v[20:21]
	v_fma_f64 v[24:25], -v[18:19], v[20:21], 1.0
	v_fmac_f64_e32 v[20:21], v[24:25], v[20:21]
	v_mul_f64 v[24:25], v[22:23], v[20:21]
	v_mul_f64 v[26:27], v[18:19], v[24:25]
	v_fma_f64 v[18:19], v[24:25], v[18:19], -v[26:27]
	v_fmac_f64_e32 v[18:19], v[24:25], v[16:17]
	v_add_f64 v[16:17], v[26:27], v[18:19]
	v_add_f64 v[28:29], v[22:23], -v[16:17]
	v_add_f64 v[26:27], v[16:17], -v[26:27]
	;; [unrolled: 1-line block ×5, first 2 shown]
	v_add_f64 v[16:17], v[18:19], v[16:17]
	v_add_f64 v[16:17], v[28:29], v[16:17]
	v_mul_f64 v[16:17], v[20:21], v[16:17]
	v_add_f64 v[18:19], v[24:25], v[16:17]
	v_add_f64 v[20:21], v[18:19], -v[24:25]
	s_mov_b32 s20, 0xbf559e2b
	v_add_f64 v[16:17], v[16:17], -v[20:21]
	v_mul_f64 v[20:21], v[18:19], v[18:19]
	v_mov_b32_e32 v22, 0x6b47b09a
	v_mov_b32_e32 v23, 0x3fc38538
	s_mov_b32 s21, 0x3fc3ab76
	v_fmac_f64_e32 v[22:23], s[20:21], v[20:21]
	v_mov_b32_e32 v24, 0xd7f4df2e
	v_mov_b32_e32 v25, 0x3fc7474d
	v_fmac_f64_e32 v[24:25], v[20:21], v[22:23]
	v_mov_b32_e32 v22, 0x16291751
	v_mov_b32_e32 v23, 0x3fcc71c0
	;; [unrolled: 3-line block ×5, first 2 shown]
	v_fmac_f64_e32 v[24:25], v[20:21], v[22:23]
	v_ldexp_f64 v[22:23], v[18:19], 1
	v_mul_f64 v[18:19], v[18:19], v[20:21]
	v_mul_f64 v[18:19], v[18:19], v[24:25]
	v_add_f64 v[20:21], v[22:23], v[18:19]
	v_add_f64 v[22:23], v[20:21], -v[22:23]
	v_ldexp_f64 v[16:17], v[16:17], 1
	v_add_f64 v[18:19], v[18:19], -v[22:23]
	v_add_f64 v[16:17], v[16:17], v[18:19]
	v_add_f64 v[18:19], v[20:21], v[16:17]
	v_add_f64 v[20:21], v[18:19], -v[20:21]
	s_mov_b32 s20, 0xfefa39ef
	v_add_f64 v[16:17], v[16:17], -v[20:21]
	v_cvt_f64_i32_e32 v[20:21], v30
	s_mov_b32 s21, 0x3fe62e42
	v_mul_f64 v[22:23], v[20:21], s[20:21]
	v_fma_f64 v[24:25], v[20:21], s[20:21], -v[22:23]
	s_mov_b32 s20, 0x3b39803f
	s_mov_b32 s21, 0x3c7abc9e
	v_fmac_f64_e32 v[24:25], s[20:21], v[20:21]
	v_add_f64 v[20:21], v[22:23], v[24:25]
	v_add_f64 v[22:23], v[20:21], -v[22:23]
	v_add_f64 v[22:23], v[24:25], -v[22:23]
	v_add_f64 v[24:25], v[20:21], v[18:19]
	v_add_f64 v[26:27], v[24:25], -v[20:21]
	v_add_f64 v[28:29], v[24:25], -v[26:27]
	;; [unrolled: 1-line block ×4, first 2 shown]
	v_add_f64 v[18:19], v[18:19], v[20:21]
	v_add_f64 v[20:21], v[22:23], v[16:17]
	v_add_f64 v[26:27], v[20:21], -v[22:23]
	v_add_f64 v[28:29], v[20:21], -v[26:27]
	v_add_f64 v[18:19], v[20:21], v[18:19]
	v_add_f64 v[22:23], v[22:23], -v[28:29]
	v_add_f64 v[16:17], v[16:17], -v[26:27]
	v_add_f64 v[20:21], v[24:25], v[18:19]
	v_add_f64 v[16:17], v[16:17], v[22:23]
	v_add_f64 v[22:23], v[20:21], -v[24:25]
	v_add_f64 v[18:19], v[18:19], -v[22:23]
	s_mov_b32 s20, 0
	v_add_f64 v[16:17], v[16:17], v[18:19]
	s_mov_b32 s21, 0x7ff00000
	v_add_f64 v[16:17], v[20:21], v[16:17]
	v_cmp_eq_f64_e32 vcc, s[20:21], v[6:7]
	v_cndmask_b32_e32 v16, v16, v6, vcc
	v_cndmask_b32_e32 v17, v17, v7, vcc
	v_mov_b32_e32 v18, 0xfff00000
	v_cmp_neq_f64_e32 vcc, 0, v[6:7]
	v_cndmask_b32_e32 v7, v18, v17, vcc
	v_cndmask_b32_e32 v6, 0, v16, vcc
	v_mul_f64 v[6:7], v[6:7], v[14:15]
	v_fma_f64 v[6:7], v[8:9], 0.5, -v[6:7]
	v_mul_f64 v[12:13], v[12:13], v[6:7]
                                        ; implicit-def: $vgpr8_vgpr9
.LBB5_47:
	s_andn2_saveexec_b64 s[14:15], s[14:15]
	s_cbranch_execz .LBB5_49
; %bb.48:
	s_mov_b32 s20, 0
	s_mov_b32 s21, 0x40200000
	v_div_scale_f64 v[6:7], s[22:23], v[8:9], v[8:9], s[20:21]
	v_rcp_f64_e32 v[12:13], v[6:7]
	s_mov_b32 s22, 0
	s_brev_b32 s23, 8
	v_fma_f64 v[14:15], -v[6:7], v[12:13], 1.0
	v_fmac_f64_e32 v[12:13], v[12:13], v[14:15]
	v_fma_f64 v[14:15], -v[6:7], v[12:13], 1.0
	v_fmac_f64_e32 v[12:13], v[12:13], v[14:15]
	v_div_scale_f64 v[14:15], vcc, s[20:21], v[8:9], s[20:21]
	v_mul_f64 v[16:17], v[14:15], v[12:13]
	v_fma_f64 v[6:7], -v[6:7], v[16:17], v[14:15]
	v_mov_b32_e32 v14, 0xcf8c9ee1
	s_nop 0
	v_div_fmas_f64 v[6:7], v[6:7], v[12:13], v[16:17]
	v_div_fixup_f64 v[6:7], v[6:7], v[8:9], s[20:21]
	s_mov_b32 s20, 0xcf8c9ee1
	v_add_f64 v[6:7], v[6:7], -2.0
	v_mov_b32_e32 v12, 0x93812603
	v_mov_b32_e32 v13, 0xbc72fecc
	s_mov_b32 s21, 0x3c5871a5
	v_fmac_f64_e32 v[12:13], s[20:21], v[6:7]
	v_mov_b32_e32 v15, 0xbc5871a5
	s_mov_b32 s20, 0x41a8cdf4
	v_fmac_f64_e32 v[14:15], v[6:7], v[12:13]
	s_mov_b32 s21, 0x3c8e092e
	v_add_f64 v[14:15], v[14:15], s[20:21]
	s_mov_b32 s20, 0x74d77641
	v_fma_f64 v[12:13], v[6:7], v[14:15], -v[12:13]
	s_mov_b32 s21, 0xbca82f94
	v_add_f64 v[12:13], v[12:13], s[20:21]
	s_mov_b32 s20, 0x6b94785b
	v_fma_f64 v[14:15], v[6:7], v[12:13], -v[14:15]
	;; [unrolled: 4-line block ×21, first 2 shown]
	s_mov_b32 s21, 0xbfa019f7
	v_add_f64 v[12:13], v[12:13], s[20:21]
	v_cmp_gt_f64_e32 vcc, s[22:23], v[8:9]
	v_fma_f64 v[6:7], v[6:7], v[12:13], -v[14:15]
	v_cndmask_b32_e64 v12, 0, 1, vcc
	v_lshlrev_b32_e32 v12, 8, v12
	v_ldexp_f64 v[8:9], v[8:9], v12
	v_rsq_f64_e32 v[12:13], v[8:9]
	s_mov_b32 s20, 0x9f4e6907
	s_mov_b32 s21, 0x400385bd
	v_add_f64 v[6:7], v[6:7], s[20:21]
	v_add_f64 v[6:7], v[6:7], -v[14:15]
	v_mul_f64 v[14:15], v[8:9], v[12:13]
	v_mul_f64 v[12:13], v[12:13], 0.5
	v_fma_f64 v[16:17], -v[12:13], v[14:15], 0.5
	v_fmac_f64_e32 v[14:15], v[14:15], v[16:17]
	v_fma_f64 v[18:19], -v[14:15], v[14:15], v[8:9]
	v_fmac_f64_e32 v[12:13], v[12:13], v[16:17]
	v_fmac_f64_e32 v[14:15], v[18:19], v[12:13]
	v_fma_f64 v[16:17], -v[14:15], v[14:15], v[8:9]
	v_fmac_f64_e32 v[14:15], v[16:17], v[12:13]
	v_mov_b32_e32 v12, 0xffffff80
	v_cndmask_b32_e32 v12, 0, v12, vcc
	v_ldexp_f64 v[12:13], v[14:15], v12
	v_mov_b32_e32 v14, 0x260
	v_cmp_class_f64_e32 vcc, v[8:9], v14
	v_mul_f64 v[6:7], v[6:7], 0.5
	v_cndmask_b32_e32 v9, v13, v9, vcc
	v_cndmask_b32_e32 v8, v12, v8, vcc
	v_div_scale_f64 v[12:13], s[20:21], v[8:9], v[8:9], v[6:7]
	v_rcp_f64_e32 v[14:15], v[12:13]
	v_fma_f64 v[16:17], -v[12:13], v[14:15], 1.0
	v_fmac_f64_e32 v[14:15], v[14:15], v[16:17]
	v_fma_f64 v[16:17], -v[12:13], v[14:15], 1.0
	v_fmac_f64_e32 v[14:15], v[14:15], v[16:17]
	v_div_scale_f64 v[16:17], vcc, v[6:7], v[8:9], v[6:7]
	v_mul_f64 v[18:19], v[16:17], v[14:15]
	v_fma_f64 v[12:13], -v[12:13], v[18:19], v[16:17]
	s_nop 1
	v_div_fmas_f64 v[12:13], v[12:13], v[14:15], v[18:19]
	v_div_fixup_f64 v[12:13], v[12:13], v[8:9], v[6:7]
.LBB5_49:
	s_or_b64 exec, exec, s[14:15]
.LBB5_50:
	s_or_b64 exec, exec, s[12:13]
.LBB5_51:
	s_or_b64 exec, exec, s[10:11]
	s_add_u32 s4, s16, s4
	s_addc_u32 s5, s17, s5
	v_mov_b32_e32 v6, s5
	v_add_co_u32_e32 v7, vcc, s4, v1
	v_addc_co_u32_e32 v6, vcc, 0, v6, vcc
	global_store_dwordx4 v1, v[2:5], s[4:5]
	s_nop 0
	v_add_co_u32_e32 v2, vcc, 0x1000, v7
	v_addc_co_u32_e32 v3, vcc, 0, v6, vcc
	global_store_dwordx4 v[2:3], v[10:13], off
	s_and_b64 vcc, exec, s[6:7]
	s_cbranch_vccz .LBB5_2
.LBB5_52:
	s_mov_b32 s12, s8
	v_mov_b32_e32 v31, v0
	v_mov_b32_e32 v0, s16
	;; [unrolled: 1-line block ×6, first 2 shown]
	s_getpc_b64 s[4:5]
	s_add_u32 s4, s4, _ZN2at6native25elementwise_kernel_helperILb0EZZZNS0_12_GLOBAL__N_137scaled_modified_bessel_k0_kernel_cudaERNS_18TensorIteratorBaseEENKUlvE_clEvENKUlvE_clEvEUldE_NS0_6memory8policies11unroll_baseILi256ESt5arrayIPcLm2EE23TrivialOffsetCalculatorILi1EjESF_NS8_15LoadWithoutCastENS8_16StoreWithoutCastELi4ELi1EEEEEvT0_T1_@rel32@lo+4
	s_addc_u32 s5, s5, _ZN2at6native25elementwise_kernel_helperILb0EZZZNS0_12_GLOBAL__N_137scaled_modified_bessel_k0_kernel_cudaERNS_18TensorIteratorBaseEENKUlvE_clEvENKUlvE_clEvEUldE_NS0_6memory8policies11unroll_baseILi256ESt5arrayIPcLm2EE23TrivialOffsetCalculatorILi1EjESF_NS8_15LoadWithoutCastENS8_16StoreWithoutCastELi4ELi1EEEEEvT0_T1_@rel32@hi+12
	s_swappc_b64 s[30:31], s[4:5]
	s_endpgm
	.section	.rodata,"a",@progbits
	.p2align	6, 0x0
	.amdhsa_kernel _ZN2at6native29vectorized_elementwise_kernelILi2EZZZNS0_12_GLOBAL__N_137scaled_modified_bessel_k0_kernel_cudaERNS_18TensorIteratorBaseEENKUlvE_clEvENKUlvE_clEvEUldE_St5arrayIPcLm2EEEEviT0_T1_
		.amdhsa_group_segment_fixed_size 0
		.amdhsa_private_segment_fixed_size 0
		.amdhsa_kernarg_size 24
		.amdhsa_user_sgpr_count 8
		.amdhsa_user_sgpr_private_segment_buffer 1
		.amdhsa_user_sgpr_dispatch_ptr 0
		.amdhsa_user_sgpr_queue_ptr 0
		.amdhsa_user_sgpr_kernarg_segment_ptr 1
		.amdhsa_user_sgpr_dispatch_id 0
		.amdhsa_user_sgpr_flat_scratch_init 1
		.amdhsa_user_sgpr_kernarg_preload_length 0
		.amdhsa_user_sgpr_kernarg_preload_offset 0
		.amdhsa_user_sgpr_private_segment_size 0
		.amdhsa_uses_dynamic_stack 0
		.amdhsa_system_sgpr_private_segment_wavefront_offset 0
		.amdhsa_system_sgpr_workgroup_id_x 1
		.amdhsa_system_sgpr_workgroup_id_y 0
		.amdhsa_system_sgpr_workgroup_id_z 0
		.amdhsa_system_sgpr_workgroup_info 0
		.amdhsa_system_vgpr_workitem_id 0
		.amdhsa_next_free_vgpr 40
		.amdhsa_next_free_sgpr 33
		.amdhsa_accum_offset 40
		.amdhsa_reserve_vcc 1
		.amdhsa_reserve_flat_scratch 1
		.amdhsa_float_round_mode_32 0
		.amdhsa_float_round_mode_16_64 0
		.amdhsa_float_denorm_mode_32 3
		.amdhsa_float_denorm_mode_16_64 3
		.amdhsa_dx10_clamp 1
		.amdhsa_ieee_mode 1
		.amdhsa_fp16_overflow 0
		.amdhsa_tg_split 0
		.amdhsa_exception_fp_ieee_invalid_op 0
		.amdhsa_exception_fp_denorm_src 0
		.amdhsa_exception_fp_ieee_div_zero 0
		.amdhsa_exception_fp_ieee_overflow 0
		.amdhsa_exception_fp_ieee_underflow 0
		.amdhsa_exception_fp_ieee_inexact 0
		.amdhsa_exception_int_div_zero 0
	.end_amdhsa_kernel
	.section	.text._ZN2at6native29vectorized_elementwise_kernelILi2EZZZNS0_12_GLOBAL__N_137scaled_modified_bessel_k0_kernel_cudaERNS_18TensorIteratorBaseEENKUlvE_clEvENKUlvE_clEvEUldE_St5arrayIPcLm2EEEEviT0_T1_,"axG",@progbits,_ZN2at6native29vectorized_elementwise_kernelILi2EZZZNS0_12_GLOBAL__N_137scaled_modified_bessel_k0_kernel_cudaERNS_18TensorIteratorBaseEENKUlvE_clEvENKUlvE_clEvEUldE_St5arrayIPcLm2EEEEviT0_T1_,comdat
.Lfunc_end5:
	.size	_ZN2at6native29vectorized_elementwise_kernelILi2EZZZNS0_12_GLOBAL__N_137scaled_modified_bessel_k0_kernel_cudaERNS_18TensorIteratorBaseEENKUlvE_clEvENKUlvE_clEvEUldE_St5arrayIPcLm2EEEEviT0_T1_, .Lfunc_end5-_ZN2at6native29vectorized_elementwise_kernelILi2EZZZNS0_12_GLOBAL__N_137scaled_modified_bessel_k0_kernel_cudaERNS_18TensorIteratorBaseEENKUlvE_clEvENKUlvE_clEvEUldE_St5arrayIPcLm2EEEEviT0_T1_
                                        ; -- End function
	.section	.AMDGPU.csdata,"",@progbits
; Kernel info:
; codeLenInByte = 20556
; NumSgprs: 39
; NumVgprs: 40
; NumAgprs: 0
; TotalNumVgprs: 40
; ScratchSize: 0
; MemoryBound: 0
; FloatMode: 240
; IeeeMode: 1
; LDSByteSize: 0 bytes/workgroup (compile time only)
; SGPRBlocks: 4
; VGPRBlocks: 4
; NumSGPRsForWavesPerEU: 39
; NumVGPRsForWavesPerEU: 40
; AccumOffset: 40
; Occupancy: 8
; WaveLimiterHint : 1
; COMPUTE_PGM_RSRC2:SCRATCH_EN: 0
; COMPUTE_PGM_RSRC2:USER_SGPR: 8
; COMPUTE_PGM_RSRC2:TRAP_HANDLER: 0
; COMPUTE_PGM_RSRC2:TGID_X_EN: 1
; COMPUTE_PGM_RSRC2:TGID_Y_EN: 0
; COMPUTE_PGM_RSRC2:TGID_Z_EN: 0
; COMPUTE_PGM_RSRC2:TIDIG_COMP_CNT: 0
; COMPUTE_PGM_RSRC3_GFX90A:ACCUM_OFFSET: 9
; COMPUTE_PGM_RSRC3_GFX90A:TG_SPLIT: 0
	.section	.text._ZN2at6native27unrolled_elementwise_kernelIZZZNS0_12_GLOBAL__N_137scaled_modified_bessel_k0_kernel_cudaERNS_18TensorIteratorBaseEENKUlvE_clEvENKUlvE_clEvEUldE_St5arrayIPcLm2EELi4E23TrivialOffsetCalculatorILi1EjESC_NS0_6memory15LoadWithoutCastENSD_16StoreWithoutCastEEEviT_T0_T2_T3_T4_T5_,"axG",@progbits,_ZN2at6native27unrolled_elementwise_kernelIZZZNS0_12_GLOBAL__N_137scaled_modified_bessel_k0_kernel_cudaERNS_18TensorIteratorBaseEENKUlvE_clEvENKUlvE_clEvEUldE_St5arrayIPcLm2EELi4E23TrivialOffsetCalculatorILi1EjESC_NS0_6memory15LoadWithoutCastENSD_16StoreWithoutCastEEEviT_T0_T2_T3_T4_T5_,comdat
	.globl	_ZN2at6native27unrolled_elementwise_kernelIZZZNS0_12_GLOBAL__N_137scaled_modified_bessel_k0_kernel_cudaERNS_18TensorIteratorBaseEENKUlvE_clEvENKUlvE_clEvEUldE_St5arrayIPcLm2EELi4E23TrivialOffsetCalculatorILi1EjESC_NS0_6memory15LoadWithoutCastENSD_16StoreWithoutCastEEEviT_T0_T2_T3_T4_T5_ ; -- Begin function _ZN2at6native27unrolled_elementwise_kernelIZZZNS0_12_GLOBAL__N_137scaled_modified_bessel_k0_kernel_cudaERNS_18TensorIteratorBaseEENKUlvE_clEvENKUlvE_clEvEUldE_St5arrayIPcLm2EELi4E23TrivialOffsetCalculatorILi1EjESC_NS0_6memory15LoadWithoutCastENSD_16StoreWithoutCastEEEviT_T0_T2_T3_T4_T5_
	.p2align	8
	.type	_ZN2at6native27unrolled_elementwise_kernelIZZZNS0_12_GLOBAL__N_137scaled_modified_bessel_k0_kernel_cudaERNS_18TensorIteratorBaseEENKUlvE_clEvENKUlvE_clEvEUldE_St5arrayIPcLm2EELi4E23TrivialOffsetCalculatorILi1EjESC_NS0_6memory15LoadWithoutCastENSD_16StoreWithoutCastEEEviT_T0_T2_T3_T4_T5_,@function
_ZN2at6native27unrolled_elementwise_kernelIZZZNS0_12_GLOBAL__N_137scaled_modified_bessel_k0_kernel_cudaERNS_18TensorIteratorBaseEENKUlvE_clEvENKUlvE_clEvEUldE_St5arrayIPcLm2EELi4E23TrivialOffsetCalculatorILi1EjESC_NS0_6memory15LoadWithoutCastENSD_16StoreWithoutCastEEEviT_T0_T2_T3_T4_T5_: ; @_ZN2at6native27unrolled_elementwise_kernelIZZZNS0_12_GLOBAL__N_137scaled_modified_bessel_k0_kernel_cudaERNS_18TensorIteratorBaseEENKUlvE_clEvENKUlvE_clEvEUldE_St5arrayIPcLm2EELi4E23TrivialOffsetCalculatorILi1EjESC_NS0_6memory15LoadWithoutCastENSD_16StoreWithoutCastEEEviT_T0_T2_T3_T4_T5_
; %bb.0:
	s_add_u32 flat_scratch_lo, s6, s9
	s_load_dword s6, s[4:5], 0x0
	s_load_dwordx4 s[16:19], s[4:5], 0x8
	s_addc_u32 flat_scratch_hi, s7, 0
	s_add_u32 s0, s0, s9
	s_addc_u32 s1, s1, 0
	s_lshl_b32 s4, s8, 10
	s_waitcnt lgkmcnt(0)
	s_sub_i32 s6, s6, s4
	s_mov_b32 s12, s8
	v_mov_b32_e32 v31, v0
	v_mov_b32_e32 v0, s16
	v_mov_b32_e32 v1, s17
	v_mov_b32_e32 v2, s18
	v_mov_b32_e32 v3, s19
	v_mov_b32_e32 v4, s6
	s_mov_b32 s32, 0
	s_getpc_b64 s[4:5]
	s_add_u32 s4, s4, _ZN2at6native25elementwise_kernel_helperILb0EZZZNS0_12_GLOBAL__N_137scaled_modified_bessel_k0_kernel_cudaERNS_18TensorIteratorBaseEENKUlvE_clEvENKUlvE_clEvEUldE_NS0_6memory8policies11unroll_baseILi256ESt5arrayIPcLm2EE23TrivialOffsetCalculatorILi1EjESF_NS8_15LoadWithoutCastENS8_16StoreWithoutCastELi4ELi1EEEEEvT0_T1_@rel32@lo+4
	s_addc_u32 s5, s5, _ZN2at6native25elementwise_kernel_helperILb0EZZZNS0_12_GLOBAL__N_137scaled_modified_bessel_k0_kernel_cudaERNS_18TensorIteratorBaseEENKUlvE_clEvENKUlvE_clEvEUldE_NS0_6memory8policies11unroll_baseILi256ESt5arrayIPcLm2EE23TrivialOffsetCalculatorILi1EjESF_NS8_15LoadWithoutCastENS8_16StoreWithoutCastELi4ELi1EEEEEvT0_T1_@rel32@hi+12
	s_swappc_b64 s[30:31], s[4:5]
	s_endpgm
	.section	.rodata,"a",@progbits
	.p2align	6, 0x0
	.amdhsa_kernel _ZN2at6native27unrolled_elementwise_kernelIZZZNS0_12_GLOBAL__N_137scaled_modified_bessel_k0_kernel_cudaERNS_18TensorIteratorBaseEENKUlvE_clEvENKUlvE_clEvEUldE_St5arrayIPcLm2EELi4E23TrivialOffsetCalculatorILi1EjESC_NS0_6memory15LoadWithoutCastENSD_16StoreWithoutCastEEEviT_T0_T2_T3_T4_T5_
		.amdhsa_group_segment_fixed_size 0
		.amdhsa_private_segment_fixed_size 0
		.amdhsa_kernarg_size 28
		.amdhsa_user_sgpr_count 8
		.amdhsa_user_sgpr_private_segment_buffer 1
		.amdhsa_user_sgpr_dispatch_ptr 0
		.amdhsa_user_sgpr_queue_ptr 0
		.amdhsa_user_sgpr_kernarg_segment_ptr 1
		.amdhsa_user_sgpr_dispatch_id 0
		.amdhsa_user_sgpr_flat_scratch_init 1
		.amdhsa_user_sgpr_kernarg_preload_length 0
		.amdhsa_user_sgpr_kernarg_preload_offset 0
		.amdhsa_user_sgpr_private_segment_size 0
		.amdhsa_uses_dynamic_stack 0
		.amdhsa_system_sgpr_private_segment_wavefront_offset 0
		.amdhsa_system_sgpr_workgroup_id_x 1
		.amdhsa_system_sgpr_workgroup_id_y 0
		.amdhsa_system_sgpr_workgroup_id_z 0
		.amdhsa_system_sgpr_workgroup_info 0
		.amdhsa_system_vgpr_workitem_id 0
		.amdhsa_next_free_vgpr 40
		.amdhsa_next_free_sgpr 33
		.amdhsa_accum_offset 40
		.amdhsa_reserve_vcc 1
		.amdhsa_reserve_flat_scratch 1
		.amdhsa_float_round_mode_32 0
		.amdhsa_float_round_mode_16_64 0
		.amdhsa_float_denorm_mode_32 3
		.amdhsa_float_denorm_mode_16_64 3
		.amdhsa_dx10_clamp 1
		.amdhsa_ieee_mode 1
		.amdhsa_fp16_overflow 0
		.amdhsa_tg_split 0
		.amdhsa_exception_fp_ieee_invalid_op 0
		.amdhsa_exception_fp_denorm_src 0
		.amdhsa_exception_fp_ieee_div_zero 0
		.amdhsa_exception_fp_ieee_overflow 0
		.amdhsa_exception_fp_ieee_underflow 0
		.amdhsa_exception_fp_ieee_inexact 0
		.amdhsa_exception_int_div_zero 0
	.end_amdhsa_kernel
	.section	.text._ZN2at6native27unrolled_elementwise_kernelIZZZNS0_12_GLOBAL__N_137scaled_modified_bessel_k0_kernel_cudaERNS_18TensorIteratorBaseEENKUlvE_clEvENKUlvE_clEvEUldE_St5arrayIPcLm2EELi4E23TrivialOffsetCalculatorILi1EjESC_NS0_6memory15LoadWithoutCastENSD_16StoreWithoutCastEEEviT_T0_T2_T3_T4_T5_,"axG",@progbits,_ZN2at6native27unrolled_elementwise_kernelIZZZNS0_12_GLOBAL__N_137scaled_modified_bessel_k0_kernel_cudaERNS_18TensorIteratorBaseEENKUlvE_clEvENKUlvE_clEvEUldE_St5arrayIPcLm2EELi4E23TrivialOffsetCalculatorILi1EjESC_NS0_6memory15LoadWithoutCastENSD_16StoreWithoutCastEEEviT_T0_T2_T3_T4_T5_,comdat
.Lfunc_end6:
	.size	_ZN2at6native27unrolled_elementwise_kernelIZZZNS0_12_GLOBAL__N_137scaled_modified_bessel_k0_kernel_cudaERNS_18TensorIteratorBaseEENKUlvE_clEvENKUlvE_clEvEUldE_St5arrayIPcLm2EELi4E23TrivialOffsetCalculatorILi1EjESC_NS0_6memory15LoadWithoutCastENSD_16StoreWithoutCastEEEviT_T0_T2_T3_T4_T5_, .Lfunc_end6-_ZN2at6native27unrolled_elementwise_kernelIZZZNS0_12_GLOBAL__N_137scaled_modified_bessel_k0_kernel_cudaERNS_18TensorIteratorBaseEENKUlvE_clEvENKUlvE_clEvEUldE_St5arrayIPcLm2EELi4E23TrivialOffsetCalculatorILi1EjESC_NS0_6memory15LoadWithoutCastENSD_16StoreWithoutCastEEEviT_T0_T2_T3_T4_T5_
                                        ; -- End function
	.section	.AMDGPU.csdata,"",@progbits
; Kernel info:
; codeLenInByte = 104
; NumSgprs: 39
; NumVgprs: 40
; NumAgprs: 0
; TotalNumVgprs: 40
; ScratchSize: 0
; MemoryBound: 0
; FloatMode: 240
; IeeeMode: 1
; LDSByteSize: 0 bytes/workgroup (compile time only)
; SGPRBlocks: 4
; VGPRBlocks: 4
; NumSGPRsForWavesPerEU: 39
; NumVGPRsForWavesPerEU: 40
; AccumOffset: 40
; Occupancy: 8
; WaveLimiterHint : 0
; COMPUTE_PGM_RSRC2:SCRATCH_EN: 0
; COMPUTE_PGM_RSRC2:USER_SGPR: 8
; COMPUTE_PGM_RSRC2:TRAP_HANDLER: 0
; COMPUTE_PGM_RSRC2:TGID_X_EN: 1
; COMPUTE_PGM_RSRC2:TGID_Y_EN: 0
; COMPUTE_PGM_RSRC2:TGID_Z_EN: 0
; COMPUTE_PGM_RSRC2:TIDIG_COMP_CNT: 0
; COMPUTE_PGM_RSRC3_GFX90A:ACCUM_OFFSET: 9
; COMPUTE_PGM_RSRC3_GFX90A:TG_SPLIT: 0
	.section	.text._ZN2at6native32elementwise_kernel_manual_unrollILi128ELi4EZNS0_22gpu_kernel_impl_nocastIZZZNS0_12_GLOBAL__N_137scaled_modified_bessel_k0_kernel_cudaERNS_18TensorIteratorBaseEENKUlvE_clEvENKUlvE_clEvEUldE_EEvS5_RKT_EUlibE_EEviT1_,"axG",@progbits,_ZN2at6native32elementwise_kernel_manual_unrollILi128ELi4EZNS0_22gpu_kernel_impl_nocastIZZZNS0_12_GLOBAL__N_137scaled_modified_bessel_k0_kernel_cudaERNS_18TensorIteratorBaseEENKUlvE_clEvENKUlvE_clEvEUldE_EEvS5_RKT_EUlibE_EEviT1_,comdat
	.globl	_ZN2at6native32elementwise_kernel_manual_unrollILi128ELi4EZNS0_22gpu_kernel_impl_nocastIZZZNS0_12_GLOBAL__N_137scaled_modified_bessel_k0_kernel_cudaERNS_18TensorIteratorBaseEENKUlvE_clEvENKUlvE_clEvEUldE_EEvS5_RKT_EUlibE_EEviT1_ ; -- Begin function _ZN2at6native32elementwise_kernel_manual_unrollILi128ELi4EZNS0_22gpu_kernel_impl_nocastIZZZNS0_12_GLOBAL__N_137scaled_modified_bessel_k0_kernel_cudaERNS_18TensorIteratorBaseEENKUlvE_clEvENKUlvE_clEvEUldE_EEvS5_RKT_EUlibE_EEviT1_
	.p2align	8
	.type	_ZN2at6native32elementwise_kernel_manual_unrollILi128ELi4EZNS0_22gpu_kernel_impl_nocastIZZZNS0_12_GLOBAL__N_137scaled_modified_bessel_k0_kernel_cudaERNS_18TensorIteratorBaseEENKUlvE_clEvENKUlvE_clEvEUldE_EEvS5_RKT_EUlibE_EEviT1_,@function
_ZN2at6native32elementwise_kernel_manual_unrollILi128ELi4EZNS0_22gpu_kernel_impl_nocastIZZZNS0_12_GLOBAL__N_137scaled_modified_bessel_k0_kernel_cudaERNS_18TensorIteratorBaseEENKUlvE_clEvENKUlvE_clEvEUldE_EEvS5_RKT_EUlibE_EEviT1_: ; @_ZN2at6native32elementwise_kernel_manual_unrollILi128ELi4EZNS0_22gpu_kernel_impl_nocastIZZZNS0_12_GLOBAL__N_137scaled_modified_bessel_k0_kernel_cudaERNS_18TensorIteratorBaseEENKUlvE_clEvENKUlvE_clEvEUldE_EEvS5_RKT_EUlibE_EEviT1_
; %bb.0:
	s_load_dword s57, s[4:5], 0x0
	s_load_dword s33, s[4:5], 0x8
	s_or_b32 s4, s4, 8
	v_lshl_or_b32 v12, s6, 9, v0
	v_or_b32_e32 v9, 0x180, v12
	s_waitcnt lgkmcnt(0)
	v_cmp_le_i32_e32 vcc, s57, v9
	s_add_i32 s56, s33, -1
	s_cmp_gt_u32 s56, 1
	s_cselect_b64 s[6:7], -1, 0
	s_and_saveexec_b64 s[0:1], vcc
	s_xor_b64 s[34:35], exec, s[0:1]
	s_cbranch_execz .LBB7_8
; %bb.1:
	s_load_dwordx4 s[28:31], s[4:5], 0x4
	s_load_dwordx2 s[40:41], s[4:5], 0x14
	s_load_dwordx4 s[24:27], s[4:5], 0xc4
	s_load_dwordx4 s[0:3], s[4:5], 0x148
	s_cmp_lg_u32 s33, 0
	s_cselect_b64 s[46:47], -1, 0
	s_add_u32 s44, s4, 0xc4
	s_addc_u32 s45, s5, 0
	s_min_u32 s58, s56, 15
	s_cmp_gt_u32 s33, 1
	s_cselect_b64 s[42:43], -1, 0
	v_cmp_gt_i32_e32 vcc, s57, v12
	s_and_saveexec_b64 s[48:49], vcc
	s_cbranch_execz .LBB7_16
; %bb.2:
	s_andn2_b64 vcc, exec, s[6:7]
	s_cbranch_vccnz .LBB7_24
; %bb.3:
	s_mov_b32 s50, 0
	s_andn2_b64 vcc, exec, s[46:47]
	v_mov_b32_e32 v2, 0
	v_mov_b32_e32 v0, 0
	s_cbranch_vccnz .LBB7_128
; %bb.4:
	s_add_i32 s59, s58, 1
	s_cmp_eq_u32 s56, 2
	s_cbranch_scc1 .LBB7_123
; %bb.5:
	s_and_b32 s50, s59, 28
	s_mov_b32 s51, 0
	v_mov_b32_e32 v0, 0
	s_mov_b64 s[52:53], s[4:5]
	s_mov_b64 s[54:55], s[44:45]
	v_mov_b32_e32 v3, v12
	v_mov_b32_e32 v2, 0
.LBB7_6:                                ; =>This Inner Loop Header: Depth=1
	s_load_dwordx8 s[16:23], s[52:53], 0x4
	s_load_dwordx4 s[36:39], s[52:53], 0x24
	s_load_dwordx8 s[8:15], s[54:55], 0x0
	s_add_u32 s52, s52, 48
	s_addc_u32 s53, s53, 0
	s_waitcnt lgkmcnt(0)
	v_mul_hi_u32 v1, s17, v3
	v_add_u32_e32 v1, v3, v1
	v_lshrrev_b32_e32 v1, s18, v1
	v_mul_lo_u32 v4, v1, s16
	v_mul_hi_u32 v5, s20, v1
	v_sub_u32_e32 v3, v3, v4
	v_add_u32_e32 v4, v1, v5
	v_lshrrev_b32_e32 v4, s21, v4
	v_mul_lo_u32 v6, v4, s19
	v_mul_hi_u32 v7, s23, v4
	v_sub_u32_e32 v1, v1, v6
	v_add_u32_e32 v6, v4, v7
	v_mul_lo_u32 v5, v3, s9
	v_mul_lo_u32 v3, v3, s8
	v_mul_lo_u32 v7, v1, s11
	v_mul_lo_u32 v1, v1, s10
	v_lshrrev_b32_e32 v6, s36, v6
	v_add3_u32 v0, v3, v0, v1
	v_mul_hi_u32 v3, s38, v6
	v_add_u32_e32 v3, v6, v3
	v_lshrrev_b32_e32 v3, s39, v3
	s_add_i32 s51, s51, 4
	v_add3_u32 v1, v5, v2, v7
	v_mul_lo_u32 v2, v6, s22
	v_mul_lo_u32 v5, v3, s37
	s_add_u32 s54, s54, 32
	v_sub_u32_e32 v2, v4, v2
	v_sub_u32_e32 v5, v6, v5
	s_addc_u32 s55, s55, 0
	v_mul_lo_u32 v4, v2, s12
	v_mul_lo_u32 v2, v2, s13
	;; [unrolled: 1-line block ×4, first 2 shown]
	s_cmp_lg_u32 s50, s51
	v_add3_u32 v2, v2, v1, v5
	v_add3_u32 v0, v4, v0, v6
	s_cbranch_scc1 .LBB7_6
; %bb.7:
	v_mov_b32_e32 v1, v2
	s_branch .LBB7_124
.LBB7_8:
	s_andn2_saveexec_b64 s[0:1], s[34:35]
	s_cbranch_execz .LBB7_175
.LBB7_9:
	v_cndmask_b32_e64 v0, 0, 1, s[6:7]
	v_cmp_ne_u32_e64 s[0:1], 1, v0
	s_andn2_b64 vcc, exec, s[6:7]
	s_cbranch_vccnz .LBB7_23
; %bb.10:
	s_mov_b32 s2, 0
	s_cmp_lg_u32 s33, 0
	v_mov_b32_e32 v10, 0
	v_mov_b32_e32 v0, 0
	s_cbranch_scc0 .LBB7_15
; %bb.11:
	s_min_u32 s30, s56, 15
	s_add_i32 s30, s30, 1
	s_cmp_eq_u32 s56, 2
	s_cbranch_scc1 .LBB7_26
; %bb.12:
	s_add_u32 s6, s4, 0xc4
	s_addc_u32 s7, s5, 0
	s_and_b32 s2, s30, 28
	s_mov_b32 s3, 0
	v_mov_b32_e32 v0, 0
	s_mov_b64 s[28:29], s[4:5]
	v_mov_b32_e32 v2, v12
	v_mov_b32_e32 v10, 0
.LBB7_13:                               ; =>This Inner Loop Header: Depth=1
	s_load_dwordx8 s[16:23], s[28:29], 0x4
	s_load_dwordx4 s[24:27], s[28:29], 0x24
	s_load_dwordx8 s[8:15], s[6:7], 0x0
	s_add_u32 s28, s28, 48
	s_addc_u32 s29, s29, 0
	s_waitcnt lgkmcnt(0)
	v_mul_hi_u32 v1, s17, v2
	v_add_u32_e32 v1, v2, v1
	v_lshrrev_b32_e32 v1, s18, v1
	v_mul_lo_u32 v3, v1, s16
	v_mul_hi_u32 v4, s20, v1
	v_sub_u32_e32 v2, v2, v3
	v_add_u32_e32 v3, v1, v4
	v_lshrrev_b32_e32 v3, s21, v3
	v_mul_lo_u32 v5, v3, s19
	v_mul_hi_u32 v6, s23, v3
	v_sub_u32_e32 v1, v1, v5
	v_add_u32_e32 v5, v3, v6
	v_mul_lo_u32 v4, v2, s9
	v_mul_lo_u32 v2, v2, s8
	;; [unrolled: 1-line block ×4, first 2 shown]
	v_lshrrev_b32_e32 v5, s24, v5
	v_add3_u32 v0, v2, v0, v1
	v_add3_u32 v1, v4, v10, v6
	v_mul_lo_u32 v2, v5, s22
	v_mul_hi_u32 v4, s26, v5
	v_sub_u32_e32 v2, v3, v2
	v_add_u32_e32 v3, v5, v4
	v_mul_lo_u32 v4, v2, s12
	v_mul_lo_u32 v6, v2, s13
	v_lshrrev_b32_e32 v2, s27, v3
	s_add_i32 s3, s3, 4
	v_mul_lo_u32 v3, v2, s25
	s_add_u32 s6, s6, 32
	v_sub_u32_e32 v3, v5, v3
	s_addc_u32 s7, s7, 0
	v_mul_lo_u32 v5, v3, s14
	v_mul_lo_u32 v3, v3, s15
	s_cmp_lg_u32 s2, s3
	v_add3_u32 v10, v6, v1, v3
	v_add3_u32 v0, v4, v0, v5
	s_cbranch_scc1 .LBB7_13
; %bb.14:
	v_mov_b32_e32 v1, v10
	s_and_b32 s8, s30, 3
	s_cmp_eq_u32 s8, 0
	s_cbranch_scc0 .LBB7_27
.LBB7_15:
	s_cbranch_execz .LBB7_30
	s_branch .LBB7_32
.LBB7_16:
	s_or_b64 exec, exec, s[48:49]
	v_cmp_gt_i32_e32 vcc, s57, v12
	s_and_saveexec_b64 s[48:49], vcc
	s_cbranch_execz .LBB7_144
.LBB7_17:
	s_andn2_b64 vcc, exec, s[6:7]
	s_cbranch_vccnz .LBB7_25
; %bb.18:
	s_mov_b32 s50, 0
	s_andn2_b64 vcc, exec, s[46:47]
	v_mov_b32_e32 v2, 0
	v_mov_b32_e32 v0, 0
	s_cbranch_vccnz .LBB7_157
; %bb.19:
	s_add_i32 s59, s58, 1
	s_cmp_eq_u32 s56, 2
	s_cbranch_scc1 .LBB7_152
; %bb.20:
	s_and_b32 s50, s59, 28
	s_mov_b32 s51, 0
	v_mov_b32_e32 v0, 0
	s_mov_b64 s[52:53], s[4:5]
	s_mov_b64 s[54:55], s[44:45]
	v_mov_b32_e32 v3, v12
	v_mov_b32_e32 v2, 0
.LBB7_21:                               ; =>This Inner Loop Header: Depth=1
	s_load_dwordx8 s[16:23], s[52:53], 0x4
	s_load_dwordx4 s[36:39], s[52:53], 0x24
	s_load_dwordx8 s[8:15], s[54:55], 0x0
	s_add_u32 s52, s52, 48
	s_addc_u32 s53, s53, 0
	s_waitcnt lgkmcnt(0)
	v_mul_hi_u32 v1, s17, v3
	v_add_u32_e32 v1, v3, v1
	v_lshrrev_b32_e32 v1, s18, v1
	v_mul_lo_u32 v4, v1, s16
	v_mul_hi_u32 v5, s20, v1
	v_sub_u32_e32 v3, v3, v4
	v_add_u32_e32 v4, v1, v5
	v_lshrrev_b32_e32 v4, s21, v4
	v_mul_lo_u32 v6, v4, s19
	v_mul_hi_u32 v7, s23, v4
	v_sub_u32_e32 v1, v1, v6
	v_add_u32_e32 v6, v4, v7
	v_mul_lo_u32 v5, v3, s9
	v_mul_lo_u32 v3, v3, s8
	;; [unrolled: 1-line block ×4, first 2 shown]
	v_lshrrev_b32_e32 v6, s36, v6
	v_add3_u32 v0, v3, v0, v1
	v_mul_hi_u32 v3, s38, v6
	v_add_u32_e32 v3, v6, v3
	v_lshrrev_b32_e32 v3, s39, v3
	s_add_i32 s51, s51, 4
	v_add3_u32 v1, v5, v2, v7
	v_mul_lo_u32 v2, v6, s22
	v_mul_lo_u32 v5, v3, s37
	s_add_u32 s54, s54, 32
	v_sub_u32_e32 v2, v4, v2
	v_sub_u32_e32 v5, v6, v5
	s_addc_u32 s55, s55, 0
	v_mul_lo_u32 v4, v2, s12
	v_mul_lo_u32 v2, v2, s13
	;; [unrolled: 1-line block ×4, first 2 shown]
	s_cmp_eq_u32 s50, s51
	v_add3_u32 v2, v2, v1, v5
	v_add3_u32 v0, v4, v0, v6
	s_cbranch_scc0 .LBB7_21
; %bb.22:
	v_mov_b32_e32 v1, v2
	s_branch .LBB7_153
.LBB7_23:
                                        ; implicit-def: $vgpr10
                                        ; implicit-def: $vgpr0
	s_branch .LBB7_30
.LBB7_24:
                                        ; implicit-def: $vgpr2
                                        ; implicit-def: $vgpr0
	s_branch .LBB7_129
.LBB7_25:
                                        ; implicit-def: $vgpr2
                                        ; implicit-def: $vgpr0
	s_branch .LBB7_158
.LBB7_26:
	s_mov_b32 s3, s2
	v_pk_mov_b32 v[0:1], s[2:3], s[2:3] op_sel:[0,1]
                                        ; implicit-def: $vgpr10
	v_mov_b32_e32 v2, v12
	s_and_b32 s8, s30, 3
	s_cmp_eq_u32 s8, 0
	s_cbranch_scc1 .LBB7_15
.LBB7_27:
	s_lshl_b32 s3, s2, 3
	s_add_u32 s3, s3, s4
	s_addc_u32 s7, 0, s5
	s_add_u32 s6, s3, 0xc4
	s_addc_u32 s7, s7, 0
	s_mul_i32 s2, s2, 12
	s_add_u32 s2, s4, s2
	s_addc_u32 s3, 0, s5
.LBB7_28:                               ; =>This Inner Loop Header: Depth=1
	s_load_dwordx2 s[10:11], s[2:3], 0x4
	s_load_dword s9, s[2:3], 0xc
	s_load_dwordx2 s[12:13], s[6:7], 0x0
	v_mov_b32_e32 v4, v1
	s_add_u32 s2, s2, 12
	s_waitcnt lgkmcnt(0)
	v_mul_hi_u32 v1, s11, v2
	v_add_u32_e32 v1, v2, v1
	v_lshrrev_b32_e32 v1, s9, v1
	s_addc_u32 s3, s3, 0
	v_mul_lo_u32 v3, v1, s10
	s_add_u32 s6, s6, 8
	v_sub_u32_e32 v3, v2, v3
	s_addc_u32 s7, s7, 0
	s_add_i32 s8, s8, -1
	v_mov_b32_e32 v2, v1
	v_mad_u64_u32 v[4:5], s[10:11], v3, s13, v[4:5]
	v_mad_u64_u32 v[0:1], s[10:11], v3, s12, v[0:1]
	s_cmp_lg_u32 s8, 0
	v_mov_b32_e32 v1, v4
	s_cbranch_scc1 .LBB7_28
; %bb.29:
	v_mov_b32_e32 v10, v1
	s_cbranch_execnz .LBB7_32
.LBB7_30:
	s_load_dwordx4 s[8:11], s[4:5], 0x4
	s_load_dwordx2 s[2:3], s[4:5], 0xc4
	s_cmp_lt_u32 s33, 2
	s_waitcnt lgkmcnt(0)
	v_mul_hi_u32 v0, s9, v12
	v_add_u32_e32 v0, v12, v0
	v_lshrrev_b32_e32 v1, s10, v0
	v_mul_lo_u32 v0, v1, s8
	v_sub_u32_e32 v0, v12, v0
	v_mul_lo_u32 v10, v0, s3
	v_mul_lo_u32 v0, v0, s2
	s_cbranch_scc1 .LBB7_32
; %bb.31:
	s_load_dwordx4 s[8:11], s[4:5], 0x10
	s_load_dwordx2 s[2:3], s[4:5], 0xcc
	s_waitcnt lgkmcnt(0)
	v_mul_hi_u32 v2, s9, v1
	v_add_u32_e32 v2, v1, v2
	v_lshrrev_b32_e32 v2, s10, v2
	v_mul_lo_u32 v2, v2, s8
	v_sub_u32_e32 v2, v1, v2
	v_mad_u64_u32 v[0:1], s[6:7], v2, s2, v[0:1]
	v_mad_u64_u32 v[10:11], s[2:3], v2, s3, v[10:11]
.LBB7_32:
	s_and_b64 vcc, exec, s[0:1]
	v_add_u32_e32 v1, 0x80, v12
	s_cbranch_vccnz .LBB7_39
; %bb.33:
	s_mov_b32 s2, 0
	s_cmp_lg_u32 s33, 0
	v_mov_b32_e32 v16, 0
	v_mov_b32_e32 v2, 0
	s_cbranch_scc0 .LBB7_38
; %bb.34:
	s_min_u32 s30, s56, 15
	s_add_i32 s30, s30, 1
	s_cmp_eq_u32 s56, 2
	s_cbranch_scc1 .LBB7_40
; %bb.35:
	s_add_u32 s6, s4, 0xc4
	s_addc_u32 s7, s5, 0
	s_and_b32 s2, s30, 28
	s_mov_b32 s3, 0
	v_mov_b32_e32 v2, 0
	s_mov_b64 s[28:29], s[4:5]
	v_mov_b32_e32 v4, v1
	v_mov_b32_e32 v16, 0
.LBB7_36:                               ; =>This Inner Loop Header: Depth=1
	s_load_dwordx8 s[16:23], s[28:29], 0x4
	s_load_dwordx4 s[24:27], s[28:29], 0x24
	s_load_dwordx8 s[8:15], s[6:7], 0x0
	s_add_u32 s28, s28, 48
	s_addc_u32 s29, s29, 0
	s_waitcnt lgkmcnt(0)
	v_mul_hi_u32 v3, s17, v4
	v_add_u32_e32 v3, v4, v3
	v_lshrrev_b32_e32 v3, s18, v3
	v_mul_lo_u32 v5, v3, s16
	v_mul_hi_u32 v6, s20, v3
	v_sub_u32_e32 v4, v4, v5
	v_add_u32_e32 v5, v3, v6
	v_lshrrev_b32_e32 v5, s21, v5
	v_mul_lo_u32 v7, v5, s19
	v_mul_hi_u32 v8, s23, v5
	v_sub_u32_e32 v3, v3, v7
	v_add_u32_e32 v7, v5, v8
	v_mul_lo_u32 v6, v4, s9
	v_mul_lo_u32 v4, v4, s8
	;; [unrolled: 1-line block ×4, first 2 shown]
	v_lshrrev_b32_e32 v7, s24, v7
	v_add3_u32 v2, v4, v2, v3
	v_add3_u32 v3, v6, v16, v8
	v_mul_lo_u32 v4, v7, s22
	v_mul_hi_u32 v6, s26, v7
	v_sub_u32_e32 v4, v5, v4
	v_add_u32_e32 v5, v7, v6
	v_mul_lo_u32 v6, v4, s12
	v_mul_lo_u32 v8, v4, s13
	v_lshrrev_b32_e32 v4, s27, v5
	s_add_i32 s3, s3, 4
	v_mul_lo_u32 v5, v4, s25
	s_add_u32 s6, s6, 32
	v_sub_u32_e32 v5, v7, v5
	s_addc_u32 s7, s7, 0
	v_mul_lo_u32 v7, v5, s14
	v_mul_lo_u32 v5, v5, s15
	s_cmp_lg_u32 s2, s3
	v_add3_u32 v16, v8, v3, v5
	v_add3_u32 v2, v6, v2, v7
	s_cbranch_scc1 .LBB7_36
; %bb.37:
	v_mov_b32_e32 v3, v16
	s_and_b32 s8, s30, 3
	s_cmp_eq_u32 s8, 0
	s_cbranch_scc0 .LBB7_41
.LBB7_38:
	s_cbranch_execz .LBB7_44
	s_branch .LBB7_46
.LBB7_39:
                                        ; implicit-def: $vgpr16
                                        ; implicit-def: $vgpr2
	s_branch .LBB7_44
.LBB7_40:
	s_mov_b32 s3, s2
	v_pk_mov_b32 v[2:3], s[2:3], s[2:3] op_sel:[0,1]
                                        ; implicit-def: $vgpr16
	v_mov_b32_e32 v4, v1
	s_and_b32 s8, s30, 3
	s_cmp_eq_u32 s8, 0
	s_cbranch_scc1 .LBB7_38
.LBB7_41:
	s_lshl_b32 s3, s2, 3
	s_add_u32 s3, s3, s4
	s_addc_u32 s7, 0, s5
	s_add_u32 s6, s3, 0xc4
	s_addc_u32 s7, s7, 0
	s_mul_i32 s2, s2, 12
	s_add_u32 s2, s4, s2
	s_addc_u32 s3, 0, s5
.LBB7_42:                               ; =>This Inner Loop Header: Depth=1
	s_load_dwordx2 s[10:11], s[2:3], 0x4
	s_load_dword s9, s[2:3], 0xc
	s_load_dwordx2 s[12:13], s[6:7], 0x0
	v_mov_b32_e32 v6, v3
	s_add_u32 s2, s2, 12
	s_waitcnt lgkmcnt(0)
	v_mul_hi_u32 v3, s11, v4
	v_add_u32_e32 v3, v4, v3
	v_lshrrev_b32_e32 v3, s9, v3
	s_addc_u32 s3, s3, 0
	v_mul_lo_u32 v5, v3, s10
	s_add_u32 s6, s6, 8
	v_sub_u32_e32 v5, v4, v5
	s_addc_u32 s7, s7, 0
	s_add_i32 s8, s8, -1
	v_mov_b32_e32 v4, v3
	v_mad_u64_u32 v[6:7], s[10:11], v5, s13, v[6:7]
	v_mad_u64_u32 v[2:3], s[10:11], v5, s12, v[2:3]
	s_cmp_lg_u32 s8, 0
	v_mov_b32_e32 v3, v6
	s_cbranch_scc1 .LBB7_42
; %bb.43:
	v_mov_b32_e32 v16, v3
	s_cbranch_execnz .LBB7_46
.LBB7_44:
	s_load_dwordx4 s[8:11], s[4:5], 0x4
	s_load_dwordx2 s[2:3], s[4:5], 0xc4
	s_cmp_lt_u32 s33, 2
	s_waitcnt lgkmcnt(0)
	v_mul_hi_u32 v2, s9, v1
	v_add_u32_e32 v2, v1, v2
	v_lshrrev_b32_e32 v3, s10, v2
	v_mul_lo_u32 v2, v3, s8
	v_sub_u32_e32 v1, v1, v2
	v_mul_lo_u32 v16, v1, s3
	v_mul_lo_u32 v2, v1, s2
	s_cbranch_scc1 .LBB7_46
; %bb.45:
	s_load_dwordx4 s[8:11], s[4:5], 0x10
	s_load_dwordx2 s[2:3], s[4:5], 0xcc
	s_waitcnt lgkmcnt(0)
	v_mul_hi_u32 v1, s9, v3
	v_add_u32_e32 v1, v3, v1
	v_lshrrev_b32_e32 v1, s10, v1
	v_mul_lo_u32 v1, v1, s8
	v_sub_u32_e32 v1, v3, v1
	v_mad_u64_u32 v[2:3], s[6:7], v1, s2, v[2:3]
	v_mad_u64_u32 v[16:17], s[2:3], v1, s3, v[16:17]
.LBB7_46:
	s_and_b64 vcc, exec, s[0:1]
	v_add_u32_e32 v1, 0x100, v12
	s_cbranch_vccnz .LBB7_53
; %bb.47:
	s_mov_b32 s2, 0
	s_cmp_lg_u32 s33, 0
	v_mov_b32_e32 v14, 0
	v_mov_b32_e32 v4, 0
	s_cbranch_scc0 .LBB7_52
; %bb.48:
	s_min_u32 s30, s56, 15
	s_add_i32 s30, s30, 1
	s_cmp_eq_u32 s56, 2
	s_cbranch_scc1 .LBB7_54
; %bb.49:
	s_add_u32 s6, s4, 0xc4
	s_addc_u32 s7, s5, 0
	s_and_b32 s2, s30, 28
	s_mov_b32 s3, 0
	v_mov_b32_e32 v4, 0
	s_mov_b64 s[28:29], s[4:5]
	v_mov_b32_e32 v3, v1
	v_mov_b32_e32 v14, 0
.LBB7_50:                               ; =>This Inner Loop Header: Depth=1
	s_load_dwordx8 s[16:23], s[28:29], 0x4
	s_load_dwordx4 s[24:27], s[28:29], 0x24
	s_load_dwordx8 s[8:15], s[6:7], 0x0
	s_add_u32 s28, s28, 48
	s_addc_u32 s29, s29, 0
	s_waitcnt lgkmcnt(0)
	v_mul_hi_u32 v5, s17, v3
	v_add_u32_e32 v5, v3, v5
	v_lshrrev_b32_e32 v5, s18, v5
	v_mul_lo_u32 v6, v5, s16
	v_mul_hi_u32 v7, s20, v5
	v_sub_u32_e32 v3, v3, v6
	v_add_u32_e32 v6, v5, v7
	v_lshrrev_b32_e32 v6, s21, v6
	v_mul_lo_u32 v8, v6, s19
	v_mul_hi_u32 v11, s23, v6
	v_sub_u32_e32 v5, v5, v8
	v_add_u32_e32 v8, v6, v11
	v_mul_lo_u32 v7, v3, s9
	v_mul_lo_u32 v3, v3, s8
	;; [unrolled: 1-line block ×4, first 2 shown]
	v_lshrrev_b32_e32 v8, s24, v8
	v_add3_u32 v4, v3, v4, v5
	v_add3_u32 v5, v7, v14, v11
	v_mul_lo_u32 v3, v8, s22
	v_mul_hi_u32 v7, s26, v8
	v_sub_u32_e32 v3, v6, v3
	v_add_u32_e32 v6, v8, v7
	v_mul_lo_u32 v7, v3, s12
	v_mul_lo_u32 v11, v3, s13
	v_lshrrev_b32_e32 v3, s27, v6
	s_add_i32 s3, s3, 4
	v_mul_lo_u32 v6, v3, s25
	s_add_u32 s6, s6, 32
	v_sub_u32_e32 v6, v8, v6
	s_addc_u32 s7, s7, 0
	v_mul_lo_u32 v8, v6, s14
	v_mul_lo_u32 v6, v6, s15
	s_cmp_lg_u32 s2, s3
	v_add3_u32 v14, v11, v5, v6
	v_add3_u32 v4, v7, v4, v8
	s_cbranch_scc1 .LBB7_50
; %bb.51:
	v_mov_b32_e32 v5, v14
	s_and_b32 s8, s30, 3
	s_cmp_eq_u32 s8, 0
	s_cbranch_scc0 .LBB7_55
.LBB7_52:
	s_cbranch_execz .LBB7_58
	s_branch .LBB7_60
.LBB7_53:
                                        ; implicit-def: $vgpr14
                                        ; implicit-def: $vgpr4
	s_branch .LBB7_58
.LBB7_54:
	s_mov_b32 s3, s2
	v_pk_mov_b32 v[4:5], s[2:3], s[2:3] op_sel:[0,1]
                                        ; implicit-def: $vgpr14
	v_mov_b32_e32 v3, v1
	s_and_b32 s8, s30, 3
	s_cmp_eq_u32 s8, 0
	s_cbranch_scc1 .LBB7_52
.LBB7_55:
	s_lshl_b32 s3, s2, 3
	s_add_u32 s3, s3, s4
	s_addc_u32 s7, 0, s5
	s_add_u32 s6, s3, 0xc4
	s_addc_u32 s7, s7, 0
	s_mul_i32 s2, s2, 12
	s_add_u32 s2, s4, s2
	s_addc_u32 s3, 0, s5
.LBB7_56:                               ; =>This Inner Loop Header: Depth=1
	s_load_dwordx2 s[10:11], s[2:3], 0x4
	s_load_dword s9, s[2:3], 0xc
	s_load_dwordx2 s[12:13], s[6:7], 0x0
	v_mov_b32_e32 v6, v5
	s_add_u32 s2, s2, 12
	s_waitcnt lgkmcnt(0)
	v_mul_hi_u32 v5, s11, v3
	v_add_u32_e32 v5, v3, v5
	v_lshrrev_b32_e32 v5, s9, v5
	s_addc_u32 s3, s3, 0
	v_mul_lo_u32 v7, v5, s10
	s_add_u32 s6, s6, 8
	v_sub_u32_e32 v8, v3, v7
	s_addc_u32 s7, s7, 0
	s_add_i32 s8, s8, -1
	v_mov_b32_e32 v3, v5
	v_mad_u64_u32 v[6:7], s[10:11], v8, s13, v[6:7]
	v_mad_u64_u32 v[4:5], s[10:11], v8, s12, v[4:5]
	s_cmp_lg_u32 s8, 0
	v_mov_b32_e32 v5, v6
	s_cbranch_scc1 .LBB7_56
; %bb.57:
	v_mov_b32_e32 v14, v5
	s_cbranch_execnz .LBB7_60
.LBB7_58:
	s_load_dwordx4 s[8:11], s[4:5], 0x4
	s_load_dwordx2 s[2:3], s[4:5], 0xc4
	s_cmp_lt_u32 s33, 2
	s_waitcnt lgkmcnt(0)
	v_mul_hi_u32 v3, s9, v1
	v_add_u32_e32 v3, v1, v3
	v_lshrrev_b32_e32 v3, s10, v3
	v_mul_lo_u32 v4, v3, s8
	v_sub_u32_e32 v1, v1, v4
	v_mul_lo_u32 v14, v1, s3
	v_mul_lo_u32 v4, v1, s2
	s_cbranch_scc1 .LBB7_60
; %bb.59:
	s_load_dwordx4 s[8:11], s[4:5], 0x10
	s_load_dwordx2 s[2:3], s[4:5], 0xcc
	s_waitcnt lgkmcnt(0)
	v_mul_hi_u32 v1, s9, v3
	v_add_u32_e32 v1, v3, v1
	v_lshrrev_b32_e32 v1, s10, v1
	v_mul_lo_u32 v1, v1, s8
	v_sub_u32_e32 v1, v3, v1
	v_mad_u64_u32 v[4:5], s[6:7], v1, s2, v[4:5]
	v_mad_u64_u32 v[14:15], s[2:3], v1, s3, v[14:15]
.LBB7_60:
	s_and_b64 vcc, exec, s[0:1]
	s_cbranch_vccnz .LBB7_67
; %bb.61:
	s_mov_b32 s6, 0
	s_cmp_lg_u32 s33, 0
	v_mov_b32_e32 v8, 0
	v_mov_b32_e32 v6, 0
	s_cbranch_scc0 .LBB7_66
; %bb.62:
	s_min_u32 s28, s56, 15
	s_add_i32 s28, s28, 1
	s_cmp_eq_u32 s56, 2
	s_cbranch_scc1 .LBB7_68
; %bb.63:
	s_add_u32 s24, s4, 0xc4
	s_addc_u32 s25, s5, 0
	s_and_b32 s6, s28, 28
	s_mov_b32 s7, 0
	v_mov_b32_e32 v6, 0
	s_mov_b64 s[26:27], s[4:5]
	v_mov_b32_e32 v1, v9
	v_mov_b32_e32 v8, 0
.LBB7_64:                               ; =>This Inner Loop Header: Depth=1
	s_load_dwordx8 s[16:23], s[26:27], 0x4
	s_load_dwordx4 s[0:3], s[26:27], 0x24
	s_load_dwordx8 s[8:15], s[24:25], 0x0
	s_add_u32 s26, s26, 48
	s_addc_u32 s27, s27, 0
	s_waitcnt lgkmcnt(0)
	v_mul_hi_u32 v3, s17, v1
	v_add_u32_e32 v3, v1, v3
	v_lshrrev_b32_e32 v3, s18, v3
	v_mul_lo_u32 v5, v3, s16
	v_mul_hi_u32 v7, s20, v3
	v_sub_u32_e32 v1, v1, v5
	v_add_u32_e32 v5, v3, v7
	v_lshrrev_b32_e32 v5, s21, v5
	v_mul_lo_u32 v11, v5, s19
	v_mul_hi_u32 v12, s23, v5
	v_sub_u32_e32 v3, v3, v11
	v_add_u32_e32 v11, v5, v12
	v_mul_lo_u32 v7, v1, s9
	v_mul_lo_u32 v1, v1, s8
	;; [unrolled: 1-line block ×4, first 2 shown]
	v_lshrrev_b32_e32 v11, s0, v11
	v_add3_u32 v3, v1, v6, v3
	v_add3_u32 v6, v7, v8, v12
	v_mul_lo_u32 v1, v11, s22
	v_mul_hi_u32 v7, s2, v11
	v_sub_u32_e32 v1, v5, v1
	v_add_u32_e32 v5, v11, v7
	v_mul_lo_u32 v7, v1, s12
	v_mul_lo_u32 v8, v1, s13
	v_lshrrev_b32_e32 v1, s3, v5
	s_add_i32 s7, s7, 4
	v_mul_lo_u32 v5, v1, s1
	s_add_u32 s24, s24, 32
	v_sub_u32_e32 v5, v11, v5
	s_addc_u32 s25, s25, 0
	v_mul_lo_u32 v11, v5, s14
	v_mul_lo_u32 v5, v5, s15
	s_cmp_lg_u32 s6, s7
	v_add3_u32 v8, v8, v6, v5
	v_add3_u32 v6, v7, v3, v11
	s_cbranch_scc1 .LBB7_64
; %bb.65:
	v_mov_b32_e32 v7, v8
	s_and_b32 s7, s28, 3
	s_cmp_eq_u32 s7, 0
	s_cbranch_scc0 .LBB7_69
.LBB7_66:
	s_cbranch_execz .LBB7_72
	s_branch .LBB7_74
.LBB7_67:
                                        ; implicit-def: $vgpr8
                                        ; implicit-def: $vgpr6
	s_branch .LBB7_72
.LBB7_68:
	s_mov_b32 s7, s6
	v_pk_mov_b32 v[6:7], s[6:7], s[6:7] op_sel:[0,1]
                                        ; implicit-def: $vgpr8
	v_mov_b32_e32 v1, v9
	s_and_b32 s7, s28, 3
	s_cmp_eq_u32 s7, 0
	s_cbranch_scc1 .LBB7_66
.LBB7_69:
	s_lshl_b32 s0, s6, 3
	s_add_u32 s0, s0, s4
	s_addc_u32 s1, 0, s5
	s_add_u32 s0, s0, 0xc4
	s_addc_u32 s1, s1, 0
	s_mul_i32 s2, s6, 12
	s_add_u32 s2, s4, s2
	s_addc_u32 s3, 0, s5
.LBB7_70:                               ; =>This Inner Loop Header: Depth=1
	s_load_dwordx2 s[8:9], s[2:3], 0x4
	s_load_dword s6, s[2:3], 0xc
	s_load_dwordx2 s[10:11], s[0:1], 0x0
	s_add_u32 s2, s2, 12
	s_addc_u32 s3, s3, 0
	s_waitcnt lgkmcnt(0)
	v_mul_hi_u32 v3, s9, v1
	v_add_u32_e32 v3, v1, v3
	v_lshrrev_b32_e32 v3, s6, v3
	v_mul_lo_u32 v5, v3, s8
	v_mov_b32_e32 v8, v7
	s_add_u32 s0, s0, 8
	v_sub_u32_e32 v5, v1, v5
	s_addc_u32 s1, s1, 0
	s_add_i32 s7, s7, -1
	v_mad_u64_u32 v[12:13], s[8:9], v5, s11, v[8:9]
	v_mad_u64_u32 v[6:7], s[8:9], v5, s10, v[6:7]
	s_cmp_lg_u32 s7, 0
	v_mov_b32_e32 v1, v3
	v_mov_b32_e32 v7, v12
	s_cbranch_scc1 .LBB7_70
; %bb.71:
	v_mov_b32_e32 v8, v7
	s_cbranch_execnz .LBB7_74
.LBB7_72:
	s_load_dwordx4 s[0:3], s[4:5], 0x4
	s_load_dwordx2 s[6:7], s[4:5], 0xc4
	s_cmp_lt_u32 s33, 2
	s_waitcnt lgkmcnt(0)
	v_mul_hi_u32 v1, s1, v9
	v_add_u32_e32 v1, v9, v1
	v_lshrrev_b32_e32 v1, s2, v1
	v_mul_lo_u32 v3, v1, s0
	v_sub_u32_e32 v3, v9, v3
	v_mul_lo_u32 v8, v3, s7
	v_mul_lo_u32 v6, v3, s6
	s_cbranch_scc1 .LBB7_74
; %bb.73:
	s_load_dwordx4 s[0:3], s[4:5], 0x10
	s_load_dwordx2 s[6:7], s[4:5], 0xcc
	s_waitcnt lgkmcnt(0)
	v_mul_hi_u32 v3, s1, v1
	v_add_u32_e32 v3, v1, v3
	v_lshrrev_b32_e32 v3, s2, v3
	v_mul_lo_u32 v3, v3, s0
	v_sub_u32_e32 v1, v1, v3
	v_mad_u64_u32 v[6:7], s[0:1], v1, s6, v[6:7]
	v_mad_u64_u32 v[8:9], s[0:1], v1, s7, v[8:9]
.LBB7_74:
	s_load_dwordx4 s[0:3], s[4:5], 0x148
	s_waitcnt lgkmcnt(0)
	global_load_dwordx2 v[18:19], v10, s[2:3]
	v_mov_b32_e32 v10, 0
	v_mov_b32_e32 v11, 0x7ff00000
	v_pk_mov_b32 v[12:13], v[10:11], v[10:11] op_sel:[0,1]
	s_waitcnt vmcnt(0)
	v_cmp_neq_f64_e32 vcc, 0, v[18:19]
	s_and_saveexec_b64 s[4:5], vcc
	s_cbranch_execz .LBB7_86
; %bb.75:
	v_mov_b32_e32 v12, 0
	v_cmp_ngt_f64_e32 vcc, 0, v[18:19]
	v_mov_b32_e32 v13, 0x7ff80000
	s_and_saveexec_b64 s[6:7], vcc
	s_cbranch_execz .LBB7_85
; %bb.76:
	v_cmp_ge_f64_e32 vcc, 2.0, v[18:19]
                                        ; implicit-def: $vgpr12_vgpr13
	s_and_saveexec_b64 s[8:9], vcc
	s_xor_b64 s[8:9], exec, s[8:9]
	s_cbranch_execz .LBB7_82
; %bb.77:
	s_mov_b32 s10, 0
	s_mov_b32 s11, 0x40200000
	v_mul_f64 v[12:13], v[18:19], 0.5
	v_cmp_ge_f64_e32 vcc, s[10:11], v[18:19]
                                        ; implicit-def: $vgpr22_vgpr23
                                        ; implicit-def: $vgpr20_vgpr21
	s_and_saveexec_b64 s[10:11], vcc
	s_xor_b64 s[10:11], exec, s[10:11]
	s_cbranch_execz .LBB7_79
; %bb.78:
	s_mov_b32 s12, 0x2134d0ef
	v_add_f64 v[20:21], v[12:13], -2.0
	v_mov_b32_e32 v22, 0x977da589
	v_mov_b32_e32 v23, 0x3c833362
	s_mov_b32 s13, 0xbc545cb7
	v_fmac_f64_e32 v[22:23], s[12:13], v[20:21]
	v_mov_b32_e32 v24, 0x2134d0ef
	v_mov_b32_e32 v25, 0x3c545cb7
	s_mov_b32 s12, 0x721ebbb4
	v_fmac_f64_e32 v[24:25], v[20:21], v[22:23]
	s_mov_b32 s13, 0xbcb184eb
	v_add_f64 v[24:25], v[24:25], s[12:13]
	s_mov_b32 s12, 0x93f65eba
	v_fma_f64 v[22:23], v[20:21], v[24:25], -v[22:23]
	s_mov_b32 s13, 0x3cdee6d8
	v_add_f64 v[22:23], v[22:23], s[12:13]
	s_mov_b32 s12, 0xc297fbeb
	v_fma_f64 v[24:25], v[20:21], v[22:23], -v[24:25]
	;; [unrolled: 4-line block ×27, first 2 shown]
	s_mov_b32 s13, 0x3fe5a84e
	v_add_f64 v[24:25], v[20:21], s[12:13]
	s_mov_b32 s12, 0x652b82fe
	s_mov_b32 s13, 0x3ff71547
	v_mul_f64 v[20:21], v[18:19], s[12:13]
	s_mov_b32 s12, 0xfefa39ef
	v_rndne_f64_e32 v[20:21], v[20:21]
	s_mov_b32 s13, 0xbfe62e42
	v_fma_f64 v[26:27], s[12:13], v[20:21], v[18:19]
	s_mov_b32 s12, 0x3b39803f
	s_mov_b32 s13, 0xbc7abc9e
	v_fmac_f64_e32 v[26:27], s[12:13], v[20:21]
	s_mov_b32 s12, 0x6a5dcb37
	v_mov_b32_e32 v28, 0xfca7ab0c
	v_mov_b32_e32 v29, 0x3e928af3
	s_mov_b32 s13, 0x3e5ade15
	v_fmac_f64_e32 v[28:29], s[12:13], v[26:27]
	v_mov_b32_e32 v30, 0x623fde64
	v_mov_b32_e32 v31, 0x3ec71dee
	v_fmac_f64_e32 v[30:31], v[26:27], v[28:29]
	v_mov_b32_e32 v28, 0x7c89e6b0
	v_mov_b32_e32 v29, 0x3efa0199
	;; [unrolled: 3-line block ×8, first 2 shown]
	v_fmac_f64_e32 v[28:29], v[26:27], v[30:31]
	v_fma_f64 v[28:29], v[26:27], v[28:29], 1.0
	s_mov_b32 s12, 0
	v_fma_f64 v[26:27], v[26:27], v[28:29], 1.0
	v_cvt_i32_f64_e32 v1, v[20:21]
	s_mov_b32 s13, 0x40900000
	v_ldexp_f64 v[20:21], v[26:27], v1
	v_mov_b32_e32 v1, 0x7ff00000
	v_cmp_nlt_f64_e32 vcc, s[12:13], v[18:19]
	v_add_f64 v[22:23], v[24:25], -v[22:23]
	v_cndmask_b32_e32 v21, v1, v21, vcc
	v_cndmask_b32_e32 v20, 0, v20, vcc
	v_mul_f64 v[22:23], v[22:23], 0.5
	v_mul_f64 v[22:23], v[20:21], v[22:23]
.LBB7_79:
	s_andn2_saveexec_b64 s[10:11], s[10:11]
	s_cbranch_execz .LBB7_81
; %bb.80:
	s_mov_b32 s12, 0
	s_mov_b32 s13, 0x40400000
	v_div_scale_f64 v[20:21], s[14:15], v[18:19], v[18:19], s[12:13]
	v_rcp_f64_e32 v[22:23], v[20:21]
	v_mov_b32_e32 v28, 0xfca7ab0c
	v_mov_b32_e32 v29, 0x3e928af3
	;; [unrolled: 1-line block ×3, first 2 shown]
	v_fma_f64 v[24:25], -v[20:21], v[22:23], 1.0
	v_fmac_f64_e32 v[22:23], v[22:23], v[24:25]
	v_fma_f64 v[24:25], -v[20:21], v[22:23], 1.0
	v_fmac_f64_e32 v[22:23], v[22:23], v[24:25]
	v_div_scale_f64 v[24:25], vcc, s[12:13], v[18:19], s[12:13]
	v_mul_f64 v[26:27], v[24:25], v[22:23]
	v_fma_f64 v[20:21], -v[20:21], v[26:27], v[24:25]
	v_mov_b32_e32 v24, 0x54ca8b19
	s_nop 0
	v_div_fmas_f64 v[20:21], v[20:21], v[22:23], v[26:27]
	v_div_fixup_f64 v[20:21], v[20:21], v[18:19], s[12:13]
	s_mov_b32 s12, 0x54ca8b19
	v_add_f64 v[20:21], v[20:21], -2.0
	v_mov_b32_e32 v22, 0x66119130
	v_mov_b32_e32 v23, 0xbc5646da
	s_mov_b32 s13, 0xbc60adb7
	v_fmac_f64_e32 v[22:23], s[12:13], v[20:21]
	v_mov_b32_e32 v25, 0x3c60adb7
	s_mov_b32 s12, 0x12d98421
	v_fmac_f64_e32 v[24:25], v[20:21], v[22:23]
	s_mov_b32 s13, 0x3c89be18
	v_add_f64 v[24:25], v[24:25], s[12:13]
	s_mov_b32 s12, 0x76041cd
	v_fma_f64 v[22:23], v[20:21], v[24:25], -v[22:23]
	s_mov_b32 s13, 0x3c83f3dd
	v_add_f64 v[22:23], v[22:23], s[12:13]
	s_mov_b32 s12, 0xabd21fe4
	v_fma_f64 v[24:25], v[20:21], v[22:23], -v[24:25]
	;; [unrolled: 4-line block ×22, first 2 shown]
	s_mov_b32 s13, 0x3fe9be62
	v_add_f64 v[22:23], v[20:21], s[12:13]
	s_mov_b32 s12, 0x652b82fe
	s_mov_b32 s13, 0x3ff71547
	v_mul_f64 v[20:21], v[18:19], s[12:13]
	s_mov_b32 s12, 0xfefa39ef
	v_rndne_f64_e32 v[20:21], v[20:21]
	s_mov_b32 s13, 0xbfe62e42
	v_fma_f64 v[26:27], s[12:13], v[20:21], v[18:19]
	s_mov_b32 s12, 0x3b39803f
	s_mov_b32 s13, 0xbc7abc9e
	v_fmac_f64_e32 v[26:27], s[12:13], v[20:21]
	s_mov_b32 s12, 0x6a5dcb37
	s_mov_b32 s13, 0x3e5ade15
	v_fmac_f64_e32 v[28:29], s[12:13], v[26:27]
	v_mov_b32_e32 v31, 0x3ec71dee
	v_fmac_f64_e32 v[30:31], v[26:27], v[28:29]
	v_mov_b32_e32 v28, 0x7c89e6b0
	v_mov_b32_e32 v29, 0x3efa0199
	v_fmac_f64_e32 v[28:29], v[26:27], v[30:31]
	v_mov_b32_e32 v30, 0x14761f6e
	;; [unrolled: 3-line block ×7, first 2 shown]
	v_mov_b32_e32 v29, 0x3fe00000
	v_fmac_f64_e32 v[28:29], v[26:27], v[30:31]
	s_mov_b32 s12, 0
	v_fma_f64 v[28:29], v[26:27], v[28:29], 1.0
	s_mov_b32 s13, 0x40900000
	v_fma_f64 v[26:27], v[26:27], v[28:29], 1.0
	v_cvt_i32_f64_e32 v1, v[20:21]
	v_cmp_nlt_f64_e32 vcc, s[12:13], v[18:19]
	s_mov_b32 s12, 0
	v_ldexp_f64 v[20:21], v[26:27], v1
	v_mov_b32_e32 v1, 0x7ff00000
	s_brev_b32 s13, 8
	v_cndmask_b32_e32 v21, v1, v21, vcc
	v_cndmask_b32_e32 v20, 0, v20, vcc
	v_cmp_gt_f64_e32 vcc, s[12:13], v[18:19]
	v_cndmask_b32_e64 v1, 0, 1, vcc
	v_lshlrev_b32_e32 v1, 8, v1
	v_ldexp_f64 v[26:27], v[18:19], v1
	v_rsq_f64_e32 v[28:29], v[26:27]
	v_add_f64 v[22:23], v[22:23], -v[24:25]
	v_mov_b32_e32 v1, 0xffffff80
	v_cndmask_b32_e32 v1, 0, v1, vcc
	v_mul_f64 v[24:25], v[26:27], v[28:29]
	v_mul_f64 v[28:29], v[28:29], 0.5
	v_fma_f64 v[30:31], -v[28:29], v[24:25], 0.5
	v_fmac_f64_e32 v[24:25], v[24:25], v[30:31]
	v_fma_f64 v[32:33], -v[24:25], v[24:25], v[26:27]
	v_fmac_f64_e32 v[28:29], v[28:29], v[30:31]
	v_fmac_f64_e32 v[24:25], v[32:33], v[28:29]
	v_fma_f64 v[30:31], -v[24:25], v[24:25], v[26:27]
	v_fmac_f64_e32 v[24:25], v[30:31], v[28:29]
	v_ldexp_f64 v[24:25], v[24:25], v1
	v_mov_b32_e32 v1, 0x260
	v_mul_f64 v[22:23], v[22:23], 0.5
	v_cmp_class_f64_e32 vcc, v[26:27], v1
	v_mul_f64 v[22:23], v[20:21], v[22:23]
	v_cndmask_b32_e32 v25, v25, v27, vcc
	v_cndmask_b32_e32 v24, v24, v26, vcc
	v_div_scale_f64 v[26:27], s[12:13], v[24:25], v[24:25], v[22:23]
	v_rcp_f64_e32 v[28:29], v[26:27]
	v_fma_f64 v[30:31], -v[26:27], v[28:29], 1.0
	v_fmac_f64_e32 v[28:29], v[28:29], v[30:31]
	v_fma_f64 v[30:31], -v[26:27], v[28:29], 1.0
	v_fmac_f64_e32 v[28:29], v[28:29], v[30:31]
	v_div_scale_f64 v[30:31], vcc, v[22:23], v[24:25], v[22:23]
	v_mul_f64 v[32:33], v[30:31], v[28:29]
	v_fma_f64 v[26:27], -v[26:27], v[32:33], v[30:31]
	s_nop 1
	v_div_fmas_f64 v[26:27], v[26:27], v[28:29], v[32:33]
	v_div_fixup_f64 v[22:23], v[26:27], v[24:25], v[22:23]
.LBB7_81:
	s_or_b64 exec, exec, s[10:11]
	s_mov_b32 s10, 0xe6a7fd77
	v_fma_f64 v[18:19], v[18:19], v[18:19], -2.0
	v_mov_b32_e32 v24, 0xc384c2aa
	v_mov_b32_e32 v25, 0x3d27fb0a
	s_mov_b32 s11, 0x3ca3cee1
	v_fmac_f64_e32 v[24:25], s[10:11], v[18:19]
	v_mov_b32_e32 v26, 0xe6a7fd77
	v_mov_b32_e32 v27, 0xbca3cee1
	s_mov_b32 s10, 0x47512144
	v_fmac_f64_e32 v[26:27], v[18:19], v[24:25]
	s_mov_b32 s11, 0x3da6c25c
	v_add_f64 v[26:27], v[26:27], s[10:11]
	s_mov_b32 s10, 0x67e58a13
	v_fma_f64 v[24:25], v[18:19], v[26:27], -v[24:25]
	s_mov_b32 s11, 0x3e205c13
	v_add_f64 v[24:25], v[24:25], s[10:11]
	s_mov_b32 s10, 0xe7f95efc
	v_fma_f64 v[26:27], v[18:19], v[24:25], -v[26:27]
	;; [unrolled: 4-line block ×7, first 2 shown]
	s_mov_b32 s11, 0xbfe12166
	v_add_f64 v[18:19], v[18:19], s[10:11]
	s_mov_b32 s10, 0x55555555
	v_add_f64 v[18:19], v[18:19], -v[24:25]
	v_frexp_mant_f64_e32 v[24:25], v[12:13]
	s_mov_b32 s11, 0x3fe55555
	v_mov_b32_e32 v3, 0x3ff00000
	v_cmp_gt_f64_e32 vcc, s[10:11], v[24:25]
	v_cndmask_b32_e64 v27, v3, 2.0, vcc
	v_mov_b32_e32 v26, 0
	v_mul_f64 v[24:25], v[24:25], v[26:27]
	v_add_f64 v[26:27], v[24:25], 1.0
	v_rcp_f64_e32 v[28:29], v[26:27]
	v_add_f64 v[32:33], v[26:27], -1.0
	v_add_f64 v[30:31], v[24:25], -1.0
	v_add_f64 v[24:25], v[24:25], -v[32:33]
	v_fma_f64 v[32:33], -v[26:27], v[28:29], 1.0
	v_fmac_f64_e32 v[28:29], v[32:33], v[28:29]
	v_fma_f64 v[32:33], -v[26:27], v[28:29], 1.0
	v_fmac_f64_e32 v[28:29], v[32:33], v[28:29]
	v_mul_f64 v[32:33], v[30:31], v[28:29]
	v_mul_f64 v[34:35], v[26:27], v[32:33]
	v_fma_f64 v[26:27], v[32:33], v[26:27], -v[34:35]
	v_fmac_f64_e32 v[26:27], v[32:33], v[24:25]
	v_add_f64 v[24:25], v[34:35], v[26:27]
	v_add_f64 v[36:37], v[30:31], -v[24:25]
	v_add_f64 v[34:35], v[24:25], -v[34:35]
	;; [unrolled: 1-line block ×5, first 2 shown]
	v_add_f64 v[24:25], v[26:27], v[24:25]
	v_add_f64 v[24:25], v[36:37], v[24:25]
	v_mul_f64 v[24:25], v[28:29], v[24:25]
	v_add_f64 v[26:27], v[32:33], v[24:25]
	v_add_f64 v[28:29], v[26:27], -v[32:33]
	s_mov_b32 s10, 0xbf559e2b
	v_add_f64 v[24:25], v[24:25], -v[28:29]
	v_mul_f64 v[28:29], v[26:27], v[26:27]
	v_mov_b32_e32 v30, 0x6b47b09a
	v_mov_b32_e32 v31, 0x3fc38538
	s_mov_b32 s11, 0x3fc3ab76
	v_fmac_f64_e32 v[30:31], s[10:11], v[28:29]
	v_mov_b32_e32 v32, 0xd7f4df2e
	v_mov_b32_e32 v33, 0x3fc7474d
	v_fmac_f64_e32 v[32:33], v[28:29], v[30:31]
	v_mov_b32_e32 v30, 0x16291751
	v_mov_b32_e32 v31, 0x3fcc71c0
	;; [unrolled: 3-line block ×5, first 2 shown]
	v_fmac_f64_e32 v[32:33], v[28:29], v[30:31]
	v_ldexp_f64 v[30:31], v[26:27], 1
	v_mul_f64 v[26:27], v[26:27], v[28:29]
	v_mul_f64 v[26:27], v[26:27], v[32:33]
	v_add_f64 v[28:29], v[30:31], v[26:27]
	v_add_f64 v[30:31], v[28:29], -v[30:31]
	v_ldexp_f64 v[24:25], v[24:25], 1
	v_add_f64 v[26:27], v[26:27], -v[30:31]
	v_add_f64 v[24:25], v[24:25], v[26:27]
	v_frexp_exp_i32_f64_e32 v1, v[12:13]
	v_add_f64 v[26:27], v[28:29], v[24:25]
	v_subbrev_co_u32_e32 v1, vcc, 0, v1, vcc
	v_add_f64 v[28:29], v[26:27], -v[28:29]
	s_mov_b32 s10, 0xfefa39ef
	v_add_f64 v[24:25], v[24:25], -v[28:29]
	v_cvt_f64_i32_e32 v[28:29], v1
	s_mov_b32 s11, 0x3fe62e42
	v_mul_f64 v[30:31], v[28:29], s[10:11]
	v_fma_f64 v[32:33], v[28:29], s[10:11], -v[30:31]
	s_mov_b32 s10, 0x3b39803f
	s_mov_b32 s11, 0x3c7abc9e
	v_fmac_f64_e32 v[32:33], s[10:11], v[28:29]
	v_add_f64 v[28:29], v[30:31], v[32:33]
	v_add_f64 v[30:31], v[28:29], -v[30:31]
	v_add_f64 v[30:31], v[32:33], -v[30:31]
	v_add_f64 v[32:33], v[28:29], v[26:27]
	v_add_f64 v[34:35], v[32:33], -v[28:29]
	v_add_f64 v[36:37], v[32:33], -v[34:35]
	;; [unrolled: 1-line block ×4, first 2 shown]
	v_add_f64 v[26:27], v[26:27], v[28:29]
	v_add_f64 v[28:29], v[30:31], v[24:25]
	v_add_f64 v[34:35], v[28:29], -v[30:31]
	v_add_f64 v[36:37], v[28:29], -v[34:35]
	v_add_f64 v[26:27], v[28:29], v[26:27]
	v_add_f64 v[30:31], v[30:31], -v[36:37]
	v_add_f64 v[24:25], v[24:25], -v[34:35]
	v_add_f64 v[28:29], v[32:33], v[26:27]
	v_add_f64 v[24:25], v[24:25], v[30:31]
	v_add_f64 v[30:31], v[28:29], -v[32:33]
	v_add_f64 v[26:27], v[26:27], -v[30:31]
	s_mov_b32 s10, 0
	v_add_f64 v[24:25], v[24:25], v[26:27]
	s_mov_b32 s11, 0x7ff00000
	v_add_f64 v[24:25], v[28:29], v[24:25]
	v_cmp_eq_f64_e32 vcc, s[10:11], v[12:13]
	v_cndmask_b32_e32 v1, v24, v12, vcc
	v_cndmask_b32_e32 v3, v25, v13, vcc
	v_mov_b32_e32 v5, 0xfff00000
	v_cmp_neq_f64_e32 vcc, 0, v[12:13]
	v_cndmask_b32_e32 v13, v5, v3, vcc
	v_cndmask_b32_e32 v12, 0, v1, vcc
	v_mul_f64 v[12:13], v[12:13], v[22:23]
	v_fma_f64 v[12:13], v[18:19], 0.5, -v[12:13]
	v_mul_f64 v[12:13], v[20:21], v[12:13]
                                        ; implicit-def: $vgpr18_vgpr19
.LBB7_82:
	s_andn2_saveexec_b64 s[8:9], s[8:9]
	s_cbranch_execz .LBB7_84
; %bb.83:
	s_mov_b32 s10, 0
	s_mov_b32 s11, 0x40200000
	v_div_scale_f64 v[12:13], s[12:13], v[18:19], v[18:19], s[10:11]
	v_rcp_f64_e32 v[20:21], v[12:13]
	s_mov_b32 s12, 0
	s_brev_b32 s13, 8
	v_fma_f64 v[22:23], -v[12:13], v[20:21], 1.0
	v_fmac_f64_e32 v[20:21], v[20:21], v[22:23]
	v_fma_f64 v[22:23], -v[12:13], v[20:21], 1.0
	v_fmac_f64_e32 v[20:21], v[20:21], v[22:23]
	v_div_scale_f64 v[22:23], vcc, s[10:11], v[18:19], s[10:11]
	v_mul_f64 v[24:25], v[22:23], v[20:21]
	v_fma_f64 v[12:13], -v[12:13], v[24:25], v[22:23]
	v_mov_b32_e32 v22, 0xcf8c9ee1
	s_nop 0
	v_div_fmas_f64 v[12:13], v[12:13], v[20:21], v[24:25]
	v_div_fixup_f64 v[12:13], v[12:13], v[18:19], s[10:11]
	s_mov_b32 s10, 0xcf8c9ee1
	v_add_f64 v[12:13], v[12:13], -2.0
	v_mov_b32_e32 v20, 0x93812603
	v_mov_b32_e32 v21, 0xbc72fecc
	s_mov_b32 s11, 0x3c5871a5
	v_fmac_f64_e32 v[20:21], s[10:11], v[12:13]
	v_mov_b32_e32 v23, 0xbc5871a5
	s_mov_b32 s10, 0x41a8cdf4
	v_fmac_f64_e32 v[22:23], v[12:13], v[20:21]
	s_mov_b32 s11, 0x3c8e092e
	v_add_f64 v[22:23], v[22:23], s[10:11]
	s_mov_b32 s10, 0x74d77641
	v_fma_f64 v[20:21], v[12:13], v[22:23], -v[20:21]
	s_mov_b32 s11, 0xbca82f94
	v_add_f64 v[20:21], v[20:21], s[10:11]
	s_mov_b32 s10, 0x6b94785b
	v_fma_f64 v[22:23], v[12:13], v[20:21], -v[22:23]
	;; [unrolled: 4-line block ×20, first 2 shown]
	s_mov_b32 s11, 0x3f59b891
	v_cmp_gt_f64_e32 vcc, s[12:13], v[18:19]
	v_add_f64 v[22:23], v[22:23], s[10:11]
	s_mov_b32 s10, 0x2d4ff71e
	v_cndmask_b32_e64 v1, 0, 1, vcc
	v_fma_f64 v[20:21], v[12:13], v[22:23], -v[20:21]
	s_mov_b32 s11, 0xbfa019f7
	v_lshlrev_b32_e32 v1, 8, v1
	v_add_f64 v[20:21], v[20:21], s[10:11]
	v_ldexp_f64 v[18:19], v[18:19], v1
	v_fma_f64 v[12:13], v[12:13], v[20:21], -v[22:23]
	v_rsq_f64_e32 v[20:21], v[18:19]
	s_mov_b32 s10, 0x9f4e6907
	s_mov_b32 s11, 0x400385bd
	v_add_f64 v[12:13], v[12:13], s[10:11]
	v_add_f64 v[12:13], v[12:13], -v[22:23]
	v_mul_f64 v[22:23], v[18:19], v[20:21]
	v_mul_f64 v[20:21], v[20:21], 0.5
	v_fma_f64 v[24:25], -v[20:21], v[22:23], 0.5
	v_fmac_f64_e32 v[22:23], v[22:23], v[24:25]
	v_fma_f64 v[26:27], -v[22:23], v[22:23], v[18:19]
	v_fmac_f64_e32 v[20:21], v[20:21], v[24:25]
	v_fmac_f64_e32 v[22:23], v[26:27], v[20:21]
	v_fma_f64 v[24:25], -v[22:23], v[22:23], v[18:19]
	v_mov_b32_e32 v1, 0xffffff80
	v_fmac_f64_e32 v[22:23], v[24:25], v[20:21]
	v_cndmask_b32_e32 v1, 0, v1, vcc
	v_ldexp_f64 v[20:21], v[22:23], v1
	v_mov_b32_e32 v1, 0x260
	v_cmp_class_f64_e32 vcc, v[18:19], v1
	v_mul_f64 v[12:13], v[12:13], 0.5
	v_cndmask_b32_e32 v19, v21, v19, vcc
	v_cndmask_b32_e32 v18, v20, v18, vcc
	v_div_scale_f64 v[20:21], s[10:11], v[18:19], v[18:19], v[12:13]
	v_rcp_f64_e32 v[22:23], v[20:21]
	v_fma_f64 v[24:25], -v[20:21], v[22:23], 1.0
	v_fmac_f64_e32 v[22:23], v[22:23], v[24:25]
	v_fma_f64 v[24:25], -v[20:21], v[22:23], 1.0
	v_fmac_f64_e32 v[22:23], v[22:23], v[24:25]
	v_div_scale_f64 v[24:25], vcc, v[12:13], v[18:19], v[12:13]
	v_mul_f64 v[26:27], v[24:25], v[22:23]
	v_fma_f64 v[20:21], -v[20:21], v[26:27], v[24:25]
	s_nop 1
	v_div_fmas_f64 v[20:21], v[20:21], v[22:23], v[26:27]
	v_div_fixup_f64 v[12:13], v[20:21], v[18:19], v[12:13]
.LBB7_84:
	s_or_b64 exec, exec, s[8:9]
.LBB7_85:
	s_or_b64 exec, exec, s[6:7]
.LBB7_86:
	s_or_b64 exec, exec, s[4:5]
	global_load_dwordx2 v[16:17], v16, s[2:3]
	s_waitcnt vmcnt(0)
	v_cmp_neq_f64_e32 vcc, 0, v[16:17]
	s_and_saveexec_b64 s[4:5], vcc
	s_cbranch_execz .LBB7_98
; %bb.87:
	v_mov_b32_e32 v10, 0
	v_cmp_ngt_f64_e32 vcc, 0, v[16:17]
	v_mov_b32_e32 v11, 0x7ff80000
	s_and_saveexec_b64 s[6:7], vcc
	s_cbranch_execz .LBB7_97
; %bb.88:
	v_cmp_ge_f64_e32 vcc, 2.0, v[16:17]
                                        ; implicit-def: $vgpr10_vgpr11
	s_and_saveexec_b64 s[8:9], vcc
	s_xor_b64 s[8:9], exec, s[8:9]
	s_cbranch_execz .LBB7_94
; %bb.89:
	s_mov_b32 s10, 0
	s_mov_b32 s11, 0x40200000
	v_mul_f64 v[10:11], v[16:17], 0.5
	v_cmp_ge_f64_e32 vcc, s[10:11], v[16:17]
                                        ; implicit-def: $vgpr20_vgpr21
                                        ; implicit-def: $vgpr18_vgpr19
	s_and_saveexec_b64 s[10:11], vcc
	s_xor_b64 s[10:11], exec, s[10:11]
	s_cbranch_execz .LBB7_91
; %bb.90:
	s_mov_b32 s12, 0x2134d0ef
	v_add_f64 v[18:19], v[10:11], -2.0
	v_mov_b32_e32 v20, 0x977da589
	v_mov_b32_e32 v21, 0x3c833362
	s_mov_b32 s13, 0xbc545cb7
	v_fmac_f64_e32 v[20:21], s[12:13], v[18:19]
	v_mov_b32_e32 v22, 0x2134d0ef
	v_mov_b32_e32 v23, 0x3c545cb7
	s_mov_b32 s12, 0x721ebbb4
	v_fmac_f64_e32 v[22:23], v[18:19], v[20:21]
	s_mov_b32 s13, 0xbcb184eb
	v_add_f64 v[22:23], v[22:23], s[12:13]
	s_mov_b32 s12, 0x93f65eba
	v_fma_f64 v[20:21], v[18:19], v[22:23], -v[20:21]
	s_mov_b32 s13, 0x3cdee6d8
	v_add_f64 v[20:21], v[20:21], s[12:13]
	s_mov_b32 s12, 0xc297fbeb
	v_fma_f64 v[22:23], v[18:19], v[20:21], -v[22:23]
	;; [unrolled: 4-line block ×27, first 2 shown]
	s_mov_b32 s13, 0x3fe5a84e
	v_add_f64 v[22:23], v[18:19], s[12:13]
	s_mov_b32 s12, 0x652b82fe
	s_mov_b32 s13, 0x3ff71547
	v_mul_f64 v[18:19], v[16:17], s[12:13]
	s_mov_b32 s12, 0xfefa39ef
	v_rndne_f64_e32 v[18:19], v[18:19]
	s_mov_b32 s13, 0xbfe62e42
	v_fma_f64 v[24:25], s[12:13], v[18:19], v[16:17]
	s_mov_b32 s12, 0x3b39803f
	s_mov_b32 s13, 0xbc7abc9e
	v_fmac_f64_e32 v[24:25], s[12:13], v[18:19]
	s_mov_b32 s12, 0x6a5dcb37
	v_mov_b32_e32 v26, 0xfca7ab0c
	v_mov_b32_e32 v27, 0x3e928af3
	s_mov_b32 s13, 0x3e5ade15
	v_fmac_f64_e32 v[26:27], s[12:13], v[24:25]
	v_mov_b32_e32 v28, 0x623fde64
	v_mov_b32_e32 v29, 0x3ec71dee
	v_fmac_f64_e32 v[28:29], v[24:25], v[26:27]
	v_mov_b32_e32 v26, 0x7c89e6b0
	v_mov_b32_e32 v27, 0x3efa0199
	v_fmac_f64_e32 v[26:27], v[24:25], v[28:29]
	v_mov_b32_e32 v28, 0x14761f6e
	v_mov_b32_e32 v29, 0x3f2a01a0
	v_fmac_f64_e32 v[28:29], v[24:25], v[26:27]
	v_mov_b32_e32 v26, 0x1852b7b0
	v_mov_b32_e32 v27, 0x3f56c16c
	v_fmac_f64_e32 v[26:27], v[24:25], v[28:29]
	v_mov_b32_e32 v28, 0x11122322
	v_mov_b32_e32 v29, 0x3f811111
	v_fmac_f64_e32 v[28:29], v[24:25], v[26:27]
	v_mov_b32_e32 v26, 0x555502a1
	v_mov_b32_e32 v27, 0x3fa55555
	v_fmac_f64_e32 v[26:27], v[24:25], v[28:29]
	v_mov_b32_e32 v28, 0x55555511
	v_mov_b32_e32 v29, 0x3fc55555
	v_fmac_f64_e32 v[28:29], v[24:25], v[26:27]
	v_mov_b32_e32 v26, 11
	v_mov_b32_e32 v27, 0x3fe00000
	v_fmac_f64_e32 v[26:27], v[24:25], v[28:29]
	v_fma_f64 v[26:27], v[24:25], v[26:27], 1.0
	s_mov_b32 s12, 0
	v_fma_f64 v[24:25], v[24:25], v[26:27], 1.0
	v_cvt_i32_f64_e32 v1, v[18:19]
	s_mov_b32 s13, 0x40900000
	v_ldexp_f64 v[18:19], v[24:25], v1
	v_mov_b32_e32 v1, 0x7ff00000
	v_cmp_nlt_f64_e32 vcc, s[12:13], v[16:17]
	v_add_f64 v[20:21], v[22:23], -v[20:21]
	v_cndmask_b32_e32 v19, v1, v19, vcc
	v_cndmask_b32_e32 v18, 0, v18, vcc
	v_mul_f64 v[20:21], v[20:21], 0.5
	v_mul_f64 v[20:21], v[18:19], v[20:21]
.LBB7_91:
	s_andn2_saveexec_b64 s[10:11], s[10:11]
	s_cbranch_execz .LBB7_93
; %bb.92:
	s_mov_b32 s12, 0
	s_mov_b32 s13, 0x40400000
	v_div_scale_f64 v[18:19], s[14:15], v[16:17], v[16:17], s[12:13]
	v_rcp_f64_e32 v[20:21], v[18:19]
	v_mov_b32_e32 v26, 0xfca7ab0c
	v_mov_b32_e32 v27, 0x3e928af3
	;; [unrolled: 1-line block ×3, first 2 shown]
	v_fma_f64 v[22:23], -v[18:19], v[20:21], 1.0
	v_fmac_f64_e32 v[20:21], v[20:21], v[22:23]
	v_fma_f64 v[22:23], -v[18:19], v[20:21], 1.0
	v_fmac_f64_e32 v[20:21], v[20:21], v[22:23]
	v_div_scale_f64 v[22:23], vcc, s[12:13], v[16:17], s[12:13]
	v_mul_f64 v[24:25], v[22:23], v[20:21]
	v_fma_f64 v[18:19], -v[18:19], v[24:25], v[22:23]
	v_mov_b32_e32 v22, 0x54ca8b19
	s_nop 0
	v_div_fmas_f64 v[18:19], v[18:19], v[20:21], v[24:25]
	v_div_fixup_f64 v[18:19], v[18:19], v[16:17], s[12:13]
	s_mov_b32 s12, 0x54ca8b19
	v_add_f64 v[18:19], v[18:19], -2.0
	v_mov_b32_e32 v20, 0x66119130
	v_mov_b32_e32 v21, 0xbc5646da
	s_mov_b32 s13, 0xbc60adb7
	v_fmac_f64_e32 v[20:21], s[12:13], v[18:19]
	v_mov_b32_e32 v23, 0x3c60adb7
	s_mov_b32 s12, 0x12d98421
	v_fmac_f64_e32 v[22:23], v[18:19], v[20:21]
	s_mov_b32 s13, 0x3c89be18
	v_add_f64 v[22:23], v[22:23], s[12:13]
	s_mov_b32 s12, 0x76041cd
	v_fma_f64 v[20:21], v[18:19], v[22:23], -v[20:21]
	s_mov_b32 s13, 0x3c83f3dd
	v_add_f64 v[20:21], v[20:21], s[12:13]
	s_mov_b32 s12, 0xabd21fe4
	v_fma_f64 v[22:23], v[18:19], v[20:21], -v[22:23]
	s_mov_b32 s13, 0xbcb4600b
	v_add_f64 v[22:23], v[22:23], s[12:13]
	s_mov_b32 s12, 0xd908de38
	v_fma_f64 v[20:21], v[18:19], v[22:23], -v[20:21]
	s_mov_b32 s13, 0xbcb8aee7
	v_add_f64 v[20:21], v[20:21], s[12:13]
	s_mov_b32 s12, 0xa3eafb1f
	v_fma_f64 v[22:23], v[18:19], v[20:21], -v[22:23]
	s_mov_b32 s13, 0x3cdfee7d
	v_add_f64 v[22:23], v[22:23], s[12:13]
	s_mov_b32 s12, 0x9094e6d7
	v_fma_f64 v[20:21], v[18:19], v[22:23], -v[20:21]
	s_mov_b32 s13, 0x3cf12a91
	v_add_f64 v[20:21], v[20:21], s[12:13]
	s_mov_b32 s12, 0x7e65629a
	v_fma_f64 v[22:23], v[18:19], v[20:21], -v[22:23]
	s_mov_b32 s13, 0xbd0583fe
	v_add_f64 v[22:23], v[22:23], s[12:13]
	s_mov_b32 s12, 0xcf68bb32
	v_fma_f64 v[20:21], v[18:19], v[22:23], -v[20:21]
	s_mov_b32 s13, 0xbd275d99
	v_add_f64 v[20:21], v[20:21], s[12:13]
	s_mov_b32 s12, 0xd5fc545
	v_fma_f64 v[22:23], v[18:19], v[20:21], -v[22:23]
	s_mov_b32 s13, 0x3d1156ff
	v_add_f64 v[22:23], v[22:23], s[12:13]
	s_mov_b32 s12, 0x6b83c073
	v_fma_f64 v[20:21], v[18:19], v[22:23], -v[20:21]
	s_mov_b32 s13, 0x3d5b1c8c
	v_add_f64 v[20:21], v[20:21], s[12:13]
	s_mov_b32 s12, 0xfa268cec
	v_fma_f64 v[22:23], v[18:19], v[20:21], -v[22:23]
	s_mov_b32 s13, 0x3d694347
	v_add_f64 v[22:23], v[22:23], s[12:13]
	s_mov_b32 s12, 0x3178d66
	v_fma_f64 v[20:21], v[18:19], v[22:23], -v[20:21]
	s_mov_b32 s13, 0xbd7f9043
	v_add_f64 v[20:21], v[20:21], s[12:13]
	s_mov_b32 s12, 0x357e7bf2
	v_fma_f64 v[22:23], v[18:19], v[20:21], -v[22:23]
	s_mov_b32 s13, 0xbdad0fd7
	v_add_f64 v[22:23], v[22:23], s[12:13]
	s_mov_b32 s12, 0x8397425
	v_fma_f64 v[20:21], v[18:19], v[22:23], -v[20:21]
	s_mov_b32 s13, 0xbdc1511d
	v_add_f64 v[20:21], v[20:21], s[12:13]
	s_mov_b32 s12, 0xabe8004f
	v_fma_f64 v[22:23], v[18:19], v[20:21], -v[22:23]
	s_mov_b32 s13, 0x3daa24fe
	v_add_f64 v[22:23], v[22:23], s[12:13]
	s_mov_b32 s12, 0xc0f46f75
	v_fma_f64 v[20:21], v[18:19], v[22:23], -v[20:21]
	s_mov_b32 s13, 0x3e00f9cc
	v_add_f64 v[20:21], v[20:21], s[12:13]
	s_mov_b32 s12, 0xa9225b87
	v_fma_f64 v[22:23], v[18:19], v[20:21], -v[22:23]
	s_mov_b32 s13, 0x3e2d2c64
	v_add_f64 v[22:23], v[22:23], s[12:13]
	s_mov_b32 s12, 0x80d6d56d
	v_fma_f64 v[20:21], v[18:19], v[22:23], -v[20:21]
	s_mov_b32 s13, 0x3e585692
	v_add_f64 v[20:21], v[20:21], s[12:13]
	s_mov_b32 s12, 0xd9cd616e
	v_fma_f64 v[22:23], v[18:19], v[20:21], -v[22:23]
	s_mov_b32 s13, 0x3e8b8007
	v_add_f64 v[22:23], v[22:23], s[12:13]
	s_mov_b32 s12, 0xc101c586
	v_fma_f64 v[20:21], v[18:19], v[22:23], -v[20:21]
	s_mov_b32 s13, 0x3ec8412b
	v_add_f64 v[20:21], v[20:21], s[12:13]
	s_mov_b32 s12, 0x78999e52
	v_fma_f64 v[22:23], v[18:19], v[20:21], -v[22:23]
	s_mov_b32 s13, 0x3f120fa3
	v_add_f64 v[22:23], v[22:23], s[12:13]
	s_mov_b32 s12, 0xa2e59049
	v_fma_f64 v[20:21], v[18:19], v[22:23], -v[20:21]
	s_mov_b32 s13, 0x3f6b998c
	v_add_f64 v[20:21], v[20:21], s[12:13]
	s_mov_b32 s12, 0xaca809cb
	v_fma_f64 v[18:19], v[18:19], v[20:21], -v[22:23]
	s_mov_b32 s13, 0x3fe9be62
	v_add_f64 v[20:21], v[18:19], s[12:13]
	s_mov_b32 s12, 0x652b82fe
	s_mov_b32 s13, 0x3ff71547
	v_mul_f64 v[18:19], v[16:17], s[12:13]
	s_mov_b32 s12, 0xfefa39ef
	v_rndne_f64_e32 v[18:19], v[18:19]
	s_mov_b32 s13, 0xbfe62e42
	v_fma_f64 v[24:25], s[12:13], v[18:19], v[16:17]
	s_mov_b32 s12, 0x3b39803f
	s_mov_b32 s13, 0xbc7abc9e
	v_fmac_f64_e32 v[24:25], s[12:13], v[18:19]
	s_mov_b32 s12, 0x6a5dcb37
	s_mov_b32 s13, 0x3e5ade15
	v_fmac_f64_e32 v[26:27], s[12:13], v[24:25]
	v_mov_b32_e32 v29, 0x3ec71dee
	v_fmac_f64_e32 v[28:29], v[24:25], v[26:27]
	v_mov_b32_e32 v26, 0x7c89e6b0
	v_mov_b32_e32 v27, 0x3efa0199
	v_fmac_f64_e32 v[26:27], v[24:25], v[28:29]
	v_mov_b32_e32 v28, 0x14761f6e
	;; [unrolled: 3-line block ×7, first 2 shown]
	v_mov_b32_e32 v27, 0x3fe00000
	v_fmac_f64_e32 v[26:27], v[24:25], v[28:29]
	s_mov_b32 s12, 0
	v_fma_f64 v[26:27], v[24:25], v[26:27], 1.0
	s_mov_b32 s13, 0x40900000
	v_fma_f64 v[24:25], v[24:25], v[26:27], 1.0
	v_cvt_i32_f64_e32 v1, v[18:19]
	v_cmp_nlt_f64_e32 vcc, s[12:13], v[16:17]
	s_mov_b32 s12, 0
	v_ldexp_f64 v[18:19], v[24:25], v1
	v_mov_b32_e32 v1, 0x7ff00000
	s_brev_b32 s13, 8
	v_cndmask_b32_e32 v19, v1, v19, vcc
	v_cndmask_b32_e32 v18, 0, v18, vcc
	v_cmp_gt_f64_e32 vcc, s[12:13], v[16:17]
	v_cndmask_b32_e64 v1, 0, 1, vcc
	v_lshlrev_b32_e32 v1, 8, v1
	v_ldexp_f64 v[24:25], v[16:17], v1
	v_rsq_f64_e32 v[26:27], v[24:25]
	v_add_f64 v[20:21], v[20:21], -v[22:23]
	v_mov_b32_e32 v1, 0xffffff80
	v_cndmask_b32_e32 v1, 0, v1, vcc
	v_mul_f64 v[22:23], v[24:25], v[26:27]
	v_mul_f64 v[26:27], v[26:27], 0.5
	v_fma_f64 v[28:29], -v[26:27], v[22:23], 0.5
	v_fmac_f64_e32 v[22:23], v[22:23], v[28:29]
	v_fma_f64 v[30:31], -v[22:23], v[22:23], v[24:25]
	v_fmac_f64_e32 v[26:27], v[26:27], v[28:29]
	v_fmac_f64_e32 v[22:23], v[30:31], v[26:27]
	v_fma_f64 v[28:29], -v[22:23], v[22:23], v[24:25]
	v_fmac_f64_e32 v[22:23], v[28:29], v[26:27]
	v_ldexp_f64 v[22:23], v[22:23], v1
	v_mov_b32_e32 v1, 0x260
	v_mul_f64 v[20:21], v[20:21], 0.5
	v_cmp_class_f64_e32 vcc, v[24:25], v1
	v_mul_f64 v[20:21], v[18:19], v[20:21]
	v_cndmask_b32_e32 v23, v23, v25, vcc
	v_cndmask_b32_e32 v22, v22, v24, vcc
	v_div_scale_f64 v[24:25], s[12:13], v[22:23], v[22:23], v[20:21]
	v_rcp_f64_e32 v[26:27], v[24:25]
	v_fma_f64 v[28:29], -v[24:25], v[26:27], 1.0
	v_fmac_f64_e32 v[26:27], v[26:27], v[28:29]
	v_fma_f64 v[28:29], -v[24:25], v[26:27], 1.0
	v_fmac_f64_e32 v[26:27], v[26:27], v[28:29]
	v_div_scale_f64 v[28:29], vcc, v[20:21], v[22:23], v[20:21]
	v_mul_f64 v[30:31], v[28:29], v[26:27]
	v_fma_f64 v[24:25], -v[24:25], v[30:31], v[28:29]
	s_nop 1
	v_div_fmas_f64 v[24:25], v[24:25], v[26:27], v[30:31]
	v_div_fixup_f64 v[20:21], v[24:25], v[22:23], v[20:21]
.LBB7_93:
	s_or_b64 exec, exec, s[10:11]
	s_mov_b32 s10, 0xe6a7fd77
	v_fma_f64 v[16:17], v[16:17], v[16:17], -2.0
	v_mov_b32_e32 v22, 0xc384c2aa
	v_mov_b32_e32 v23, 0x3d27fb0a
	s_mov_b32 s11, 0x3ca3cee1
	v_fmac_f64_e32 v[22:23], s[10:11], v[16:17]
	v_mov_b32_e32 v24, 0xe6a7fd77
	v_mov_b32_e32 v25, 0xbca3cee1
	s_mov_b32 s10, 0x47512144
	v_fmac_f64_e32 v[24:25], v[16:17], v[22:23]
	s_mov_b32 s11, 0x3da6c25c
	v_add_f64 v[24:25], v[24:25], s[10:11]
	s_mov_b32 s10, 0x67e58a13
	v_fma_f64 v[22:23], v[16:17], v[24:25], -v[22:23]
	s_mov_b32 s11, 0x3e205c13
	v_add_f64 v[22:23], v[22:23], s[10:11]
	s_mov_b32 s10, 0xe7f95efc
	v_fma_f64 v[24:25], v[16:17], v[22:23], -v[24:25]
	;; [unrolled: 4-line block ×7, first 2 shown]
	s_mov_b32 s11, 0xbfe12166
	v_add_f64 v[16:17], v[16:17], s[10:11]
	s_mov_b32 s10, 0x55555555
	v_add_f64 v[16:17], v[16:17], -v[22:23]
	v_frexp_mant_f64_e32 v[22:23], v[10:11]
	s_mov_b32 s11, 0x3fe55555
	v_mov_b32_e32 v3, 0x3ff00000
	v_cmp_gt_f64_e32 vcc, s[10:11], v[22:23]
	v_cndmask_b32_e64 v25, v3, 2.0, vcc
	v_mov_b32_e32 v24, 0
	v_mul_f64 v[22:23], v[22:23], v[24:25]
	v_add_f64 v[24:25], v[22:23], 1.0
	v_rcp_f64_e32 v[26:27], v[24:25]
	v_add_f64 v[30:31], v[24:25], -1.0
	v_add_f64 v[28:29], v[22:23], -1.0
	v_add_f64 v[22:23], v[22:23], -v[30:31]
	v_fma_f64 v[30:31], -v[24:25], v[26:27], 1.0
	v_fmac_f64_e32 v[26:27], v[30:31], v[26:27]
	v_fma_f64 v[30:31], -v[24:25], v[26:27], 1.0
	v_fmac_f64_e32 v[26:27], v[30:31], v[26:27]
	v_mul_f64 v[30:31], v[28:29], v[26:27]
	v_mul_f64 v[32:33], v[24:25], v[30:31]
	v_fma_f64 v[24:25], v[30:31], v[24:25], -v[32:33]
	v_fmac_f64_e32 v[24:25], v[30:31], v[22:23]
	v_add_f64 v[22:23], v[32:33], v[24:25]
	v_add_f64 v[34:35], v[28:29], -v[22:23]
	v_add_f64 v[32:33], v[22:23], -v[32:33]
	v_add_f64 v[28:29], v[28:29], -v[34:35]
	v_add_f64 v[22:23], v[28:29], -v[22:23]
	v_add_f64 v[24:25], v[32:33], -v[24:25]
	v_add_f64 v[22:23], v[24:25], v[22:23]
	v_add_f64 v[22:23], v[34:35], v[22:23]
	v_mul_f64 v[22:23], v[26:27], v[22:23]
	v_add_f64 v[24:25], v[30:31], v[22:23]
	v_add_f64 v[26:27], v[24:25], -v[30:31]
	s_mov_b32 s10, 0xbf559e2b
	v_add_f64 v[22:23], v[22:23], -v[26:27]
	v_mul_f64 v[26:27], v[24:25], v[24:25]
	v_mov_b32_e32 v28, 0x6b47b09a
	v_mov_b32_e32 v29, 0x3fc38538
	s_mov_b32 s11, 0x3fc3ab76
	v_fmac_f64_e32 v[28:29], s[10:11], v[26:27]
	v_mov_b32_e32 v30, 0xd7f4df2e
	v_mov_b32_e32 v31, 0x3fc7474d
	v_fmac_f64_e32 v[30:31], v[26:27], v[28:29]
	v_mov_b32_e32 v28, 0x16291751
	v_mov_b32_e32 v29, 0x3fcc71c0
	v_fmac_f64_e32 v[28:29], v[26:27], v[30:31]
	v_mov_b32_e32 v30, 0x9b27acf1
	v_mov_b32_e32 v31, 0x3fd24924
	v_fmac_f64_e32 v[30:31], v[26:27], v[28:29]
	v_mov_b32_e32 v28, 0x998ef7b6
	v_mov_b32_e32 v29, 0x3fd99999
	v_fmac_f64_e32 v[28:29], v[26:27], v[30:31]
	v_mov_b32_e32 v30, 0x55555780
	v_mov_b32_e32 v31, 0x3fe55555
	v_fmac_f64_e32 v[30:31], v[26:27], v[28:29]
	v_ldexp_f64 v[28:29], v[24:25], 1
	v_mul_f64 v[24:25], v[24:25], v[26:27]
	v_mul_f64 v[24:25], v[24:25], v[30:31]
	v_add_f64 v[26:27], v[28:29], v[24:25]
	v_add_f64 v[28:29], v[26:27], -v[28:29]
	v_ldexp_f64 v[22:23], v[22:23], 1
	v_add_f64 v[24:25], v[24:25], -v[28:29]
	v_add_f64 v[22:23], v[22:23], v[24:25]
	v_frexp_exp_i32_f64_e32 v1, v[10:11]
	v_add_f64 v[24:25], v[26:27], v[22:23]
	v_subbrev_co_u32_e32 v1, vcc, 0, v1, vcc
	v_add_f64 v[26:27], v[24:25], -v[26:27]
	s_mov_b32 s10, 0xfefa39ef
	v_add_f64 v[22:23], v[22:23], -v[26:27]
	v_cvt_f64_i32_e32 v[26:27], v1
	s_mov_b32 s11, 0x3fe62e42
	v_mul_f64 v[28:29], v[26:27], s[10:11]
	v_fma_f64 v[30:31], v[26:27], s[10:11], -v[28:29]
	s_mov_b32 s10, 0x3b39803f
	s_mov_b32 s11, 0x3c7abc9e
	v_fmac_f64_e32 v[30:31], s[10:11], v[26:27]
	v_add_f64 v[26:27], v[28:29], v[30:31]
	v_add_f64 v[28:29], v[26:27], -v[28:29]
	v_add_f64 v[28:29], v[30:31], -v[28:29]
	v_add_f64 v[30:31], v[26:27], v[24:25]
	v_add_f64 v[32:33], v[30:31], -v[26:27]
	v_add_f64 v[34:35], v[30:31], -v[32:33]
	;; [unrolled: 1-line block ×4, first 2 shown]
	v_add_f64 v[24:25], v[24:25], v[26:27]
	v_add_f64 v[26:27], v[28:29], v[22:23]
	v_add_f64 v[32:33], v[26:27], -v[28:29]
	v_add_f64 v[34:35], v[26:27], -v[32:33]
	v_add_f64 v[24:25], v[26:27], v[24:25]
	v_add_f64 v[28:29], v[28:29], -v[34:35]
	v_add_f64 v[22:23], v[22:23], -v[32:33]
	v_add_f64 v[26:27], v[30:31], v[24:25]
	v_add_f64 v[22:23], v[22:23], v[28:29]
	v_add_f64 v[28:29], v[26:27], -v[30:31]
	v_add_f64 v[24:25], v[24:25], -v[28:29]
	s_mov_b32 s10, 0
	v_add_f64 v[22:23], v[22:23], v[24:25]
	s_mov_b32 s11, 0x7ff00000
	v_add_f64 v[22:23], v[26:27], v[22:23]
	v_cmp_eq_f64_e32 vcc, s[10:11], v[10:11]
	v_cndmask_b32_e32 v1, v22, v10, vcc
	v_cndmask_b32_e32 v3, v23, v11, vcc
	v_mov_b32_e32 v5, 0xfff00000
	v_cmp_neq_f64_e32 vcc, 0, v[10:11]
	v_cndmask_b32_e32 v11, v5, v3, vcc
	v_cndmask_b32_e32 v10, 0, v1, vcc
	v_mul_f64 v[10:11], v[10:11], v[20:21]
	v_fma_f64 v[10:11], v[16:17], 0.5, -v[10:11]
	v_mul_f64 v[10:11], v[18:19], v[10:11]
                                        ; implicit-def: $vgpr16_vgpr17
.LBB7_94:
	s_andn2_saveexec_b64 s[8:9], s[8:9]
	s_cbranch_execz .LBB7_96
; %bb.95:
	s_mov_b32 s10, 0
	s_mov_b32 s11, 0x40200000
	v_div_scale_f64 v[10:11], s[12:13], v[16:17], v[16:17], s[10:11]
	v_rcp_f64_e32 v[18:19], v[10:11]
	s_mov_b32 s12, 0
	s_brev_b32 s13, 8
	v_fma_f64 v[20:21], -v[10:11], v[18:19], 1.0
	v_fmac_f64_e32 v[18:19], v[18:19], v[20:21]
	v_fma_f64 v[20:21], -v[10:11], v[18:19], 1.0
	v_fmac_f64_e32 v[18:19], v[18:19], v[20:21]
	v_div_scale_f64 v[20:21], vcc, s[10:11], v[16:17], s[10:11]
	v_mul_f64 v[22:23], v[20:21], v[18:19]
	v_fma_f64 v[10:11], -v[10:11], v[22:23], v[20:21]
	v_mov_b32_e32 v20, 0xcf8c9ee1
	s_nop 0
	v_div_fmas_f64 v[10:11], v[10:11], v[18:19], v[22:23]
	v_div_fixup_f64 v[10:11], v[10:11], v[16:17], s[10:11]
	s_mov_b32 s10, 0xcf8c9ee1
	v_add_f64 v[10:11], v[10:11], -2.0
	v_mov_b32_e32 v18, 0x93812603
	v_mov_b32_e32 v19, 0xbc72fecc
	s_mov_b32 s11, 0x3c5871a5
	v_fmac_f64_e32 v[18:19], s[10:11], v[10:11]
	v_mov_b32_e32 v21, 0xbc5871a5
	s_mov_b32 s10, 0x41a8cdf4
	v_fmac_f64_e32 v[20:21], v[10:11], v[18:19]
	s_mov_b32 s11, 0x3c8e092e
	v_add_f64 v[20:21], v[20:21], s[10:11]
	s_mov_b32 s10, 0x74d77641
	v_fma_f64 v[18:19], v[10:11], v[20:21], -v[18:19]
	s_mov_b32 s11, 0xbca82f94
	v_add_f64 v[18:19], v[18:19], s[10:11]
	s_mov_b32 s10, 0x6b94785b
	v_fma_f64 v[20:21], v[10:11], v[18:19], -v[20:21]
	;; [unrolled: 4-line block ×20, first 2 shown]
	s_mov_b32 s11, 0x3f59b891
	v_cmp_gt_f64_e32 vcc, s[12:13], v[16:17]
	v_add_f64 v[20:21], v[20:21], s[10:11]
	s_mov_b32 s10, 0x2d4ff71e
	v_cndmask_b32_e64 v1, 0, 1, vcc
	v_fma_f64 v[18:19], v[10:11], v[20:21], -v[18:19]
	s_mov_b32 s11, 0xbfa019f7
	v_lshlrev_b32_e32 v1, 8, v1
	v_add_f64 v[18:19], v[18:19], s[10:11]
	v_ldexp_f64 v[16:17], v[16:17], v1
	v_fma_f64 v[10:11], v[10:11], v[18:19], -v[20:21]
	v_rsq_f64_e32 v[18:19], v[16:17]
	s_mov_b32 s10, 0x9f4e6907
	s_mov_b32 s11, 0x400385bd
	v_add_f64 v[10:11], v[10:11], s[10:11]
	v_add_f64 v[10:11], v[10:11], -v[20:21]
	v_mul_f64 v[20:21], v[16:17], v[18:19]
	v_mul_f64 v[18:19], v[18:19], 0.5
	v_fma_f64 v[22:23], -v[18:19], v[20:21], 0.5
	v_fmac_f64_e32 v[20:21], v[20:21], v[22:23]
	v_fma_f64 v[24:25], -v[20:21], v[20:21], v[16:17]
	v_fmac_f64_e32 v[18:19], v[18:19], v[22:23]
	v_fmac_f64_e32 v[20:21], v[24:25], v[18:19]
	v_fma_f64 v[22:23], -v[20:21], v[20:21], v[16:17]
	v_mov_b32_e32 v1, 0xffffff80
	v_fmac_f64_e32 v[20:21], v[22:23], v[18:19]
	v_cndmask_b32_e32 v1, 0, v1, vcc
	v_ldexp_f64 v[18:19], v[20:21], v1
	v_mov_b32_e32 v1, 0x260
	v_cmp_class_f64_e32 vcc, v[16:17], v1
	v_mul_f64 v[10:11], v[10:11], 0.5
	v_cndmask_b32_e32 v17, v19, v17, vcc
	v_cndmask_b32_e32 v16, v18, v16, vcc
	v_div_scale_f64 v[18:19], s[10:11], v[16:17], v[16:17], v[10:11]
	v_rcp_f64_e32 v[20:21], v[18:19]
	v_fma_f64 v[22:23], -v[18:19], v[20:21], 1.0
	v_fmac_f64_e32 v[20:21], v[20:21], v[22:23]
	v_fma_f64 v[22:23], -v[18:19], v[20:21], 1.0
	v_fmac_f64_e32 v[20:21], v[20:21], v[22:23]
	v_div_scale_f64 v[22:23], vcc, v[10:11], v[16:17], v[10:11]
	v_mul_f64 v[24:25], v[22:23], v[20:21]
	v_fma_f64 v[18:19], -v[18:19], v[24:25], v[22:23]
	s_nop 1
	v_div_fmas_f64 v[18:19], v[18:19], v[20:21], v[24:25]
	v_div_fixup_f64 v[10:11], v[18:19], v[16:17], v[10:11]
.LBB7_96:
	s_or_b64 exec, exec, s[8:9]
.LBB7_97:
	s_or_b64 exec, exec, s[6:7]
.LBB7_98:
	s_or_b64 exec, exec, s[4:5]
	global_load_dwordx2 v[18:19], v14, s[2:3]
	v_mov_b32_e32 v14, 0
	v_mov_b32_e32 v15, 0x7ff00000
	v_pk_mov_b32 v[16:17], v[14:15], v[14:15] op_sel:[0,1]
	s_waitcnt vmcnt(0)
	v_cmp_neq_f64_e32 vcc, 0, v[18:19]
	s_and_saveexec_b64 s[4:5], vcc
	s_cbranch_execz .LBB7_110
; %bb.99:
	v_mov_b32_e32 v16, 0
	v_cmp_ngt_f64_e32 vcc, 0, v[18:19]
	v_mov_b32_e32 v17, 0x7ff80000
	s_and_saveexec_b64 s[6:7], vcc
	s_cbranch_execz .LBB7_109
; %bb.100:
	v_cmp_ge_f64_e32 vcc, 2.0, v[18:19]
                                        ; implicit-def: $vgpr16_vgpr17
	s_and_saveexec_b64 s[8:9], vcc
	s_xor_b64 s[8:9], exec, s[8:9]
	s_cbranch_execz .LBB7_106
; %bb.101:
	s_mov_b32 s10, 0
	s_mov_b32 s11, 0x40200000
	v_mul_f64 v[16:17], v[18:19], 0.5
	v_cmp_ge_f64_e32 vcc, s[10:11], v[18:19]
                                        ; implicit-def: $vgpr22_vgpr23
                                        ; implicit-def: $vgpr20_vgpr21
	s_and_saveexec_b64 s[10:11], vcc
	s_xor_b64 s[10:11], exec, s[10:11]
	s_cbranch_execz .LBB7_103
; %bb.102:
	s_mov_b32 s12, 0x2134d0ef
	v_add_f64 v[20:21], v[16:17], -2.0
	v_mov_b32_e32 v22, 0x977da589
	v_mov_b32_e32 v23, 0x3c833362
	s_mov_b32 s13, 0xbc545cb7
	v_fmac_f64_e32 v[22:23], s[12:13], v[20:21]
	v_mov_b32_e32 v24, 0x2134d0ef
	v_mov_b32_e32 v25, 0x3c545cb7
	s_mov_b32 s12, 0x721ebbb4
	v_fmac_f64_e32 v[24:25], v[20:21], v[22:23]
	s_mov_b32 s13, 0xbcb184eb
	v_add_f64 v[24:25], v[24:25], s[12:13]
	s_mov_b32 s12, 0x93f65eba
	v_fma_f64 v[22:23], v[20:21], v[24:25], -v[22:23]
	s_mov_b32 s13, 0x3cdee6d8
	v_add_f64 v[22:23], v[22:23], s[12:13]
	s_mov_b32 s12, 0xc297fbeb
	v_fma_f64 v[24:25], v[20:21], v[22:23], -v[24:25]
	s_mov_b32 s13, 0xbd0a5022
	v_add_f64 v[24:25], v[24:25], s[12:13]
	s_mov_b32 s12, 0x4b262627
	v_fma_f64 v[22:23], v[20:21], v[24:25], -v[22:23]
	s_mov_b32 s13, 0x3d359b46
	v_add_f64 v[22:23], v[22:23], s[12:13]
	s_mov_b32 s12, 0x62ee1af0
	v_fma_f64 v[24:25], v[20:21], v[22:23], -v[24:25]
	s_mov_b32 s13, 0xbd61164c
	v_add_f64 v[24:25], v[24:25], s[12:13]
	s_mov_b32 s12, 0xe19bd324
	v_fma_f64 v[22:23], v[20:21], v[24:25], -v[22:23]
	s_mov_b32 s13, 0x3d89fe2f
	v_add_f64 v[22:23], v[22:23], s[12:13]
	s_mov_b32 s12, 0x7a946abc
	v_fma_f64 v[24:25], v[20:21], v[22:23], -v[24:25]
	s_mov_b32 s13, 0xbdb2fc95
	v_add_f64 v[24:25], v[24:25], s[12:13]
	s_mov_b32 s12, 0xcc743c10
	v_fma_f64 v[22:23], v[20:21], v[24:25], -v[22:23]
	s_mov_b32 s13, 0x3dda98be
	v_add_f64 v[22:23], v[22:23], s[12:13]
	s_mov_b32 s12, 0x13ae9556
	v_fma_f64 v[24:25], v[20:21], v[22:23], -v[24:25]
	s_mov_b32 s13, 0xbe01d4fe
	v_add_f64 v[24:25], v[24:25], s[12:13]
	s_mov_b32 s12, 0xa454cb34
	v_fma_f64 v[22:23], v[20:21], v[24:25], -v[22:23]
	s_mov_b32 s13, 0x3e26d903
	v_add_f64 v[22:23], v[22:23], s[12:13]
	s_mov_b32 s12, 0x8c0b30ab
	v_fma_f64 v[24:25], v[20:21], v[22:23], -v[24:25]
	s_mov_b32 s13, 0xbe4beaf6
	v_add_f64 v[24:25], v[24:25], s[12:13]
	s_mov_b32 s12, 0x9d4d6435
	v_fma_f64 v[22:23], v[20:21], v[24:25], -v[22:23]
	s_mov_b32 s13, 0x3e703b76
	v_add_f64 v[22:23], v[22:23], s[12:13]
	s_mov_b32 s12, 0x8f227f8d
	v_fma_f64 v[24:25], v[20:21], v[22:23], -v[24:25]
	s_mov_b32 s13, 0xbe91ec63
	v_add_f64 v[24:25], v[24:25], s[12:13]
	s_mov_b32 s12, 0x978cf4ac
	v_fma_f64 v[22:23], v[20:21], v[24:25], -v[22:23]
	s_mov_b32 s13, 0x3eb2bf24
	v_add_f64 v[22:23], v[22:23], s[12:13]
	s_mov_b32 s12, 0xcba56427
	v_fma_f64 v[24:25], v[20:21], v[22:23], -v[24:25]
	s_mov_b32 s13, 0xbed2866f
	v_add_f64 v[24:25], v[24:25], s[12:13]
	s_mov_b32 s12, 0xbe9a2859
	v_fma_f64 v[22:23], v[20:21], v[24:25], -v[22:23]
	s_mov_b32 s13, 0x3ef13f58
	v_add_f64 v[22:23], v[22:23], s[12:13]
	s_mov_b32 s12, 0x59c41d5a
	v_fma_f64 v[24:25], v[20:21], v[22:23], -v[24:25]
	s_mov_b32 s13, 0xbf0e2b26
	v_add_f64 v[24:25], v[24:25], s[12:13]
	s_mov_b32 s12, 0x74107cab
	v_fma_f64 v[22:23], v[20:21], v[24:25], -v[22:23]
	s_mov_b32 s13, 0x3f28b51b
	v_add_f64 v[22:23], v[22:23], s[12:13]
	s_mov_b32 s12, 0x1f15eb52
	v_fma_f64 v[24:25], v[20:21], v[22:23], -v[24:25]
	s_mov_b32 s13, 0xbf42e2fd
	v_add_f64 v[24:25], v[24:25], s[12:13]
	s_mov_b32 s12, 0x8a12100e
	v_fma_f64 v[22:23], v[20:21], v[24:25], -v[22:23]
	s_mov_b32 s13, 0x3f5adc75
	v_add_f64 v[22:23], v[22:23], s[12:13]
	s_mov_b32 s12, 0x201aa849
	v_fma_f64 v[24:25], v[20:21], v[22:23], -v[24:25]
	s_mov_b32 s13, 0xbf71b65e
	v_add_f64 v[24:25], v[24:25], s[12:13]
	s_mov_b32 s12, 0xf3dde3dd
	v_fma_f64 v[22:23], v[20:21], v[24:25], -v[22:23]
	s_mov_b32 s13, 0x3f859961
	v_add_f64 v[22:23], v[22:23], s[12:13]
	s_mov_b32 s12, 0xf121b6f0
	v_fma_f64 v[24:25], v[20:21], v[22:23], -v[24:25]
	s_mov_b32 s13, 0xbf984e9e
	v_add_f64 v[24:25], v[24:25], s[12:13]
	s_mov_b32 s12, 0xcea8a32d
	v_fma_f64 v[22:23], v[20:21], v[24:25], -v[22:23]
	s_mov_b32 s13, 0x3fa93e8a
	v_add_f64 v[22:23], v[22:23], s[12:13]
	s_mov_b32 s12, 0x342d06ea
	v_fma_f64 v[24:25], v[20:21], v[22:23], -v[24:25]
	s_mov_b32 s13, 0xbfb84b70
	v_add_f64 v[24:25], v[24:25], s[12:13]
	s_mov_b32 s12, 0x77ac88c0
	v_fma_f64 v[22:23], v[20:21], v[24:25], -v[22:23]
	s_mov_b32 s13, 0x3fc5f7ac
	v_add_f64 v[22:23], v[22:23], s[12:13]
	s_mov_b32 s12, 0xc057cd8d
	v_fma_f64 v[24:25], v[20:21], v[22:23], -v[24:25]
	s_mov_b32 s13, 0xbfd37feb
	v_add_f64 v[24:25], v[24:25], s[12:13]
	s_mov_b32 s12, 0x9035a22a
	v_fma_f64 v[20:21], v[20:21], v[24:25], -v[22:23]
	s_mov_b32 s13, 0x3fe5a84e
	v_add_f64 v[24:25], v[20:21], s[12:13]
	s_mov_b32 s12, 0x652b82fe
	s_mov_b32 s13, 0x3ff71547
	v_mul_f64 v[20:21], v[18:19], s[12:13]
	s_mov_b32 s12, 0xfefa39ef
	v_rndne_f64_e32 v[20:21], v[20:21]
	s_mov_b32 s13, 0xbfe62e42
	v_fma_f64 v[26:27], s[12:13], v[20:21], v[18:19]
	s_mov_b32 s12, 0x3b39803f
	s_mov_b32 s13, 0xbc7abc9e
	v_fmac_f64_e32 v[26:27], s[12:13], v[20:21]
	s_mov_b32 s12, 0x6a5dcb37
	v_mov_b32_e32 v28, 0xfca7ab0c
	v_mov_b32_e32 v29, 0x3e928af3
	s_mov_b32 s13, 0x3e5ade15
	v_fmac_f64_e32 v[28:29], s[12:13], v[26:27]
	v_mov_b32_e32 v30, 0x623fde64
	v_mov_b32_e32 v31, 0x3ec71dee
	v_fmac_f64_e32 v[30:31], v[26:27], v[28:29]
	v_mov_b32_e32 v28, 0x7c89e6b0
	v_mov_b32_e32 v29, 0x3efa0199
	;; [unrolled: 3-line block ×8, first 2 shown]
	v_fmac_f64_e32 v[28:29], v[26:27], v[30:31]
	v_fma_f64 v[28:29], v[26:27], v[28:29], 1.0
	s_mov_b32 s12, 0
	v_fma_f64 v[26:27], v[26:27], v[28:29], 1.0
	v_cvt_i32_f64_e32 v1, v[20:21]
	s_mov_b32 s13, 0x40900000
	v_ldexp_f64 v[20:21], v[26:27], v1
	v_mov_b32_e32 v1, 0x7ff00000
	v_cmp_nlt_f64_e32 vcc, s[12:13], v[18:19]
	v_add_f64 v[22:23], v[24:25], -v[22:23]
	v_cndmask_b32_e32 v21, v1, v21, vcc
	v_cndmask_b32_e32 v20, 0, v20, vcc
	v_mul_f64 v[22:23], v[22:23], 0.5
	v_mul_f64 v[22:23], v[20:21], v[22:23]
.LBB7_103:
	s_andn2_saveexec_b64 s[10:11], s[10:11]
	s_cbranch_execz .LBB7_105
; %bb.104:
	s_mov_b32 s12, 0
	s_mov_b32 s13, 0x40400000
	v_div_scale_f64 v[20:21], s[14:15], v[18:19], v[18:19], s[12:13]
	v_rcp_f64_e32 v[22:23], v[20:21]
	v_mov_b32_e32 v28, 0xfca7ab0c
	v_mov_b32_e32 v29, 0x3e928af3
	;; [unrolled: 1-line block ×3, first 2 shown]
	v_fma_f64 v[24:25], -v[20:21], v[22:23], 1.0
	v_fmac_f64_e32 v[22:23], v[22:23], v[24:25]
	v_fma_f64 v[24:25], -v[20:21], v[22:23], 1.0
	v_fmac_f64_e32 v[22:23], v[22:23], v[24:25]
	v_div_scale_f64 v[24:25], vcc, s[12:13], v[18:19], s[12:13]
	v_mul_f64 v[26:27], v[24:25], v[22:23]
	v_fma_f64 v[20:21], -v[20:21], v[26:27], v[24:25]
	v_mov_b32_e32 v24, 0x54ca8b19
	s_nop 0
	v_div_fmas_f64 v[20:21], v[20:21], v[22:23], v[26:27]
	v_div_fixup_f64 v[20:21], v[20:21], v[18:19], s[12:13]
	s_mov_b32 s12, 0x54ca8b19
	v_add_f64 v[20:21], v[20:21], -2.0
	v_mov_b32_e32 v22, 0x66119130
	v_mov_b32_e32 v23, 0xbc5646da
	s_mov_b32 s13, 0xbc60adb7
	v_fmac_f64_e32 v[22:23], s[12:13], v[20:21]
	v_mov_b32_e32 v25, 0x3c60adb7
	s_mov_b32 s12, 0x12d98421
	v_fmac_f64_e32 v[24:25], v[20:21], v[22:23]
	s_mov_b32 s13, 0x3c89be18
	v_add_f64 v[24:25], v[24:25], s[12:13]
	s_mov_b32 s12, 0x76041cd
	v_fma_f64 v[22:23], v[20:21], v[24:25], -v[22:23]
	s_mov_b32 s13, 0x3c83f3dd
	v_add_f64 v[22:23], v[22:23], s[12:13]
	s_mov_b32 s12, 0xabd21fe4
	v_fma_f64 v[24:25], v[20:21], v[22:23], -v[24:25]
	;; [unrolled: 4-line block ×22, first 2 shown]
	s_mov_b32 s13, 0x3fe9be62
	v_add_f64 v[22:23], v[20:21], s[12:13]
	s_mov_b32 s12, 0x652b82fe
	s_mov_b32 s13, 0x3ff71547
	v_mul_f64 v[20:21], v[18:19], s[12:13]
	s_mov_b32 s12, 0xfefa39ef
	v_rndne_f64_e32 v[20:21], v[20:21]
	s_mov_b32 s13, 0xbfe62e42
	v_fma_f64 v[26:27], s[12:13], v[20:21], v[18:19]
	s_mov_b32 s12, 0x3b39803f
	s_mov_b32 s13, 0xbc7abc9e
	v_fmac_f64_e32 v[26:27], s[12:13], v[20:21]
	s_mov_b32 s12, 0x6a5dcb37
	s_mov_b32 s13, 0x3e5ade15
	v_fmac_f64_e32 v[28:29], s[12:13], v[26:27]
	v_mov_b32_e32 v31, 0x3ec71dee
	v_fmac_f64_e32 v[30:31], v[26:27], v[28:29]
	v_mov_b32_e32 v28, 0x7c89e6b0
	v_mov_b32_e32 v29, 0x3efa0199
	v_fmac_f64_e32 v[28:29], v[26:27], v[30:31]
	v_mov_b32_e32 v30, 0x14761f6e
	;; [unrolled: 3-line block ×7, first 2 shown]
	v_mov_b32_e32 v29, 0x3fe00000
	v_fmac_f64_e32 v[28:29], v[26:27], v[30:31]
	s_mov_b32 s12, 0
	v_fma_f64 v[28:29], v[26:27], v[28:29], 1.0
	s_mov_b32 s13, 0x40900000
	v_fma_f64 v[26:27], v[26:27], v[28:29], 1.0
	v_cvt_i32_f64_e32 v1, v[20:21]
	v_cmp_nlt_f64_e32 vcc, s[12:13], v[18:19]
	s_mov_b32 s12, 0
	v_ldexp_f64 v[20:21], v[26:27], v1
	v_mov_b32_e32 v1, 0x7ff00000
	s_brev_b32 s13, 8
	v_cndmask_b32_e32 v21, v1, v21, vcc
	v_cndmask_b32_e32 v20, 0, v20, vcc
	v_cmp_gt_f64_e32 vcc, s[12:13], v[18:19]
	v_cndmask_b32_e64 v1, 0, 1, vcc
	v_lshlrev_b32_e32 v1, 8, v1
	v_ldexp_f64 v[26:27], v[18:19], v1
	v_rsq_f64_e32 v[28:29], v[26:27]
	v_add_f64 v[22:23], v[22:23], -v[24:25]
	v_mov_b32_e32 v1, 0xffffff80
	v_cndmask_b32_e32 v1, 0, v1, vcc
	v_mul_f64 v[24:25], v[26:27], v[28:29]
	v_mul_f64 v[28:29], v[28:29], 0.5
	v_fma_f64 v[30:31], -v[28:29], v[24:25], 0.5
	v_fmac_f64_e32 v[24:25], v[24:25], v[30:31]
	v_fma_f64 v[32:33], -v[24:25], v[24:25], v[26:27]
	v_fmac_f64_e32 v[28:29], v[28:29], v[30:31]
	v_fmac_f64_e32 v[24:25], v[32:33], v[28:29]
	v_fma_f64 v[30:31], -v[24:25], v[24:25], v[26:27]
	v_fmac_f64_e32 v[24:25], v[30:31], v[28:29]
	v_ldexp_f64 v[24:25], v[24:25], v1
	v_mov_b32_e32 v1, 0x260
	v_mul_f64 v[22:23], v[22:23], 0.5
	v_cmp_class_f64_e32 vcc, v[26:27], v1
	v_mul_f64 v[22:23], v[20:21], v[22:23]
	v_cndmask_b32_e32 v25, v25, v27, vcc
	v_cndmask_b32_e32 v24, v24, v26, vcc
	v_div_scale_f64 v[26:27], s[12:13], v[24:25], v[24:25], v[22:23]
	v_rcp_f64_e32 v[28:29], v[26:27]
	v_fma_f64 v[30:31], -v[26:27], v[28:29], 1.0
	v_fmac_f64_e32 v[28:29], v[28:29], v[30:31]
	v_fma_f64 v[30:31], -v[26:27], v[28:29], 1.0
	v_fmac_f64_e32 v[28:29], v[28:29], v[30:31]
	v_div_scale_f64 v[30:31], vcc, v[22:23], v[24:25], v[22:23]
	v_mul_f64 v[32:33], v[30:31], v[28:29]
	v_fma_f64 v[26:27], -v[26:27], v[32:33], v[30:31]
	s_nop 1
	v_div_fmas_f64 v[26:27], v[26:27], v[28:29], v[32:33]
	v_div_fixup_f64 v[22:23], v[26:27], v[24:25], v[22:23]
.LBB7_105:
	s_or_b64 exec, exec, s[10:11]
	s_mov_b32 s10, 0xe6a7fd77
	v_fma_f64 v[18:19], v[18:19], v[18:19], -2.0
	v_mov_b32_e32 v24, 0xc384c2aa
	v_mov_b32_e32 v25, 0x3d27fb0a
	s_mov_b32 s11, 0x3ca3cee1
	v_fmac_f64_e32 v[24:25], s[10:11], v[18:19]
	v_mov_b32_e32 v26, 0xe6a7fd77
	v_mov_b32_e32 v27, 0xbca3cee1
	s_mov_b32 s10, 0x47512144
	v_fmac_f64_e32 v[26:27], v[18:19], v[24:25]
	s_mov_b32 s11, 0x3da6c25c
	v_add_f64 v[26:27], v[26:27], s[10:11]
	s_mov_b32 s10, 0x67e58a13
	v_fma_f64 v[24:25], v[18:19], v[26:27], -v[24:25]
	s_mov_b32 s11, 0x3e205c13
	v_add_f64 v[24:25], v[24:25], s[10:11]
	s_mov_b32 s10, 0xe7f95efc
	v_fma_f64 v[26:27], v[18:19], v[24:25], -v[26:27]
	;; [unrolled: 4-line block ×7, first 2 shown]
	s_mov_b32 s11, 0xbfe12166
	v_add_f64 v[18:19], v[18:19], s[10:11]
	s_mov_b32 s10, 0x55555555
	v_add_f64 v[18:19], v[18:19], -v[24:25]
	v_frexp_mant_f64_e32 v[24:25], v[16:17]
	s_mov_b32 s11, 0x3fe55555
	v_mov_b32_e32 v3, 0x3ff00000
	v_cmp_gt_f64_e32 vcc, s[10:11], v[24:25]
	v_cndmask_b32_e64 v27, v3, 2.0, vcc
	v_mov_b32_e32 v26, 0
	v_mul_f64 v[24:25], v[24:25], v[26:27]
	v_add_f64 v[26:27], v[24:25], 1.0
	v_rcp_f64_e32 v[28:29], v[26:27]
	v_add_f64 v[32:33], v[26:27], -1.0
	v_add_f64 v[30:31], v[24:25], -1.0
	v_add_f64 v[24:25], v[24:25], -v[32:33]
	v_fma_f64 v[32:33], -v[26:27], v[28:29], 1.0
	v_fmac_f64_e32 v[28:29], v[32:33], v[28:29]
	v_fma_f64 v[32:33], -v[26:27], v[28:29], 1.0
	v_fmac_f64_e32 v[28:29], v[32:33], v[28:29]
	v_mul_f64 v[32:33], v[30:31], v[28:29]
	v_mul_f64 v[34:35], v[26:27], v[32:33]
	v_fma_f64 v[26:27], v[32:33], v[26:27], -v[34:35]
	v_fmac_f64_e32 v[26:27], v[32:33], v[24:25]
	v_add_f64 v[24:25], v[34:35], v[26:27]
	v_add_f64 v[36:37], v[30:31], -v[24:25]
	v_add_f64 v[34:35], v[24:25], -v[34:35]
	;; [unrolled: 1-line block ×5, first 2 shown]
	v_add_f64 v[24:25], v[26:27], v[24:25]
	v_add_f64 v[24:25], v[36:37], v[24:25]
	v_mul_f64 v[24:25], v[28:29], v[24:25]
	v_add_f64 v[26:27], v[32:33], v[24:25]
	v_add_f64 v[28:29], v[26:27], -v[32:33]
	s_mov_b32 s10, 0xbf559e2b
	v_add_f64 v[24:25], v[24:25], -v[28:29]
	v_mul_f64 v[28:29], v[26:27], v[26:27]
	v_mov_b32_e32 v30, 0x6b47b09a
	v_mov_b32_e32 v31, 0x3fc38538
	s_mov_b32 s11, 0x3fc3ab76
	v_fmac_f64_e32 v[30:31], s[10:11], v[28:29]
	v_mov_b32_e32 v32, 0xd7f4df2e
	v_mov_b32_e32 v33, 0x3fc7474d
	v_fmac_f64_e32 v[32:33], v[28:29], v[30:31]
	v_mov_b32_e32 v30, 0x16291751
	v_mov_b32_e32 v31, 0x3fcc71c0
	;; [unrolled: 3-line block ×5, first 2 shown]
	v_fmac_f64_e32 v[32:33], v[28:29], v[30:31]
	v_ldexp_f64 v[30:31], v[26:27], 1
	v_mul_f64 v[26:27], v[26:27], v[28:29]
	v_mul_f64 v[26:27], v[26:27], v[32:33]
	v_add_f64 v[28:29], v[30:31], v[26:27]
	v_add_f64 v[30:31], v[28:29], -v[30:31]
	v_ldexp_f64 v[24:25], v[24:25], 1
	v_add_f64 v[26:27], v[26:27], -v[30:31]
	v_add_f64 v[24:25], v[24:25], v[26:27]
	v_frexp_exp_i32_f64_e32 v1, v[16:17]
	v_add_f64 v[26:27], v[28:29], v[24:25]
	v_subbrev_co_u32_e32 v1, vcc, 0, v1, vcc
	v_add_f64 v[28:29], v[26:27], -v[28:29]
	s_mov_b32 s10, 0xfefa39ef
	v_add_f64 v[24:25], v[24:25], -v[28:29]
	v_cvt_f64_i32_e32 v[28:29], v1
	s_mov_b32 s11, 0x3fe62e42
	v_mul_f64 v[30:31], v[28:29], s[10:11]
	v_fma_f64 v[32:33], v[28:29], s[10:11], -v[30:31]
	s_mov_b32 s10, 0x3b39803f
	s_mov_b32 s11, 0x3c7abc9e
	v_fmac_f64_e32 v[32:33], s[10:11], v[28:29]
	v_add_f64 v[28:29], v[30:31], v[32:33]
	v_add_f64 v[30:31], v[28:29], -v[30:31]
	v_add_f64 v[30:31], v[32:33], -v[30:31]
	v_add_f64 v[32:33], v[28:29], v[26:27]
	v_add_f64 v[34:35], v[32:33], -v[28:29]
	v_add_f64 v[36:37], v[32:33], -v[34:35]
	;; [unrolled: 1-line block ×4, first 2 shown]
	v_add_f64 v[26:27], v[26:27], v[28:29]
	v_add_f64 v[28:29], v[30:31], v[24:25]
	v_add_f64 v[34:35], v[28:29], -v[30:31]
	v_add_f64 v[36:37], v[28:29], -v[34:35]
	v_add_f64 v[26:27], v[28:29], v[26:27]
	v_add_f64 v[30:31], v[30:31], -v[36:37]
	v_add_f64 v[24:25], v[24:25], -v[34:35]
	v_add_f64 v[28:29], v[32:33], v[26:27]
	v_add_f64 v[24:25], v[24:25], v[30:31]
	v_add_f64 v[30:31], v[28:29], -v[32:33]
	v_add_f64 v[26:27], v[26:27], -v[30:31]
	s_mov_b32 s10, 0
	v_add_f64 v[24:25], v[24:25], v[26:27]
	s_mov_b32 s11, 0x7ff00000
	v_add_f64 v[24:25], v[28:29], v[24:25]
	v_cmp_eq_f64_e32 vcc, s[10:11], v[16:17]
	v_cndmask_b32_e32 v1, v24, v16, vcc
	v_cndmask_b32_e32 v3, v25, v17, vcc
	v_mov_b32_e32 v5, 0xfff00000
	v_cmp_neq_f64_e32 vcc, 0, v[16:17]
	v_cndmask_b32_e32 v17, v5, v3, vcc
	v_cndmask_b32_e32 v16, 0, v1, vcc
	v_mul_f64 v[16:17], v[16:17], v[22:23]
	v_fma_f64 v[16:17], v[18:19], 0.5, -v[16:17]
	v_mul_f64 v[16:17], v[20:21], v[16:17]
                                        ; implicit-def: $vgpr18_vgpr19
.LBB7_106:
	s_andn2_saveexec_b64 s[8:9], s[8:9]
	s_cbranch_execz .LBB7_108
; %bb.107:
	s_mov_b32 s10, 0
	s_mov_b32 s11, 0x40200000
	v_div_scale_f64 v[16:17], s[12:13], v[18:19], v[18:19], s[10:11]
	v_rcp_f64_e32 v[20:21], v[16:17]
	s_mov_b32 s12, 0
	s_brev_b32 s13, 8
	v_fma_f64 v[22:23], -v[16:17], v[20:21], 1.0
	v_fmac_f64_e32 v[20:21], v[20:21], v[22:23]
	v_fma_f64 v[22:23], -v[16:17], v[20:21], 1.0
	v_fmac_f64_e32 v[20:21], v[20:21], v[22:23]
	v_div_scale_f64 v[22:23], vcc, s[10:11], v[18:19], s[10:11]
	v_mul_f64 v[24:25], v[22:23], v[20:21]
	v_fma_f64 v[16:17], -v[16:17], v[24:25], v[22:23]
	v_mov_b32_e32 v22, 0xcf8c9ee1
	s_nop 0
	v_div_fmas_f64 v[16:17], v[16:17], v[20:21], v[24:25]
	v_div_fixup_f64 v[16:17], v[16:17], v[18:19], s[10:11]
	s_mov_b32 s10, 0xcf8c9ee1
	v_add_f64 v[16:17], v[16:17], -2.0
	v_mov_b32_e32 v20, 0x93812603
	v_mov_b32_e32 v21, 0xbc72fecc
	s_mov_b32 s11, 0x3c5871a5
	v_fmac_f64_e32 v[20:21], s[10:11], v[16:17]
	v_mov_b32_e32 v23, 0xbc5871a5
	s_mov_b32 s10, 0x41a8cdf4
	v_fmac_f64_e32 v[22:23], v[16:17], v[20:21]
	s_mov_b32 s11, 0x3c8e092e
	v_add_f64 v[22:23], v[22:23], s[10:11]
	s_mov_b32 s10, 0x74d77641
	v_fma_f64 v[20:21], v[16:17], v[22:23], -v[20:21]
	s_mov_b32 s11, 0xbca82f94
	v_add_f64 v[20:21], v[20:21], s[10:11]
	s_mov_b32 s10, 0x6b94785b
	v_fma_f64 v[22:23], v[16:17], v[20:21], -v[22:23]
	;; [unrolled: 4-line block ×20, first 2 shown]
	s_mov_b32 s11, 0x3f59b891
	v_cmp_gt_f64_e32 vcc, s[12:13], v[18:19]
	v_add_f64 v[22:23], v[22:23], s[10:11]
	s_mov_b32 s10, 0x2d4ff71e
	v_cndmask_b32_e64 v1, 0, 1, vcc
	v_fma_f64 v[20:21], v[16:17], v[22:23], -v[20:21]
	s_mov_b32 s11, 0xbfa019f7
	v_lshlrev_b32_e32 v1, 8, v1
	v_add_f64 v[20:21], v[20:21], s[10:11]
	v_ldexp_f64 v[18:19], v[18:19], v1
	v_fma_f64 v[16:17], v[16:17], v[20:21], -v[22:23]
	v_rsq_f64_e32 v[20:21], v[18:19]
	s_mov_b32 s10, 0x9f4e6907
	s_mov_b32 s11, 0x400385bd
	v_add_f64 v[16:17], v[16:17], s[10:11]
	v_add_f64 v[16:17], v[16:17], -v[22:23]
	v_mul_f64 v[22:23], v[18:19], v[20:21]
	v_mul_f64 v[20:21], v[20:21], 0.5
	v_fma_f64 v[24:25], -v[20:21], v[22:23], 0.5
	v_fmac_f64_e32 v[22:23], v[22:23], v[24:25]
	v_fma_f64 v[26:27], -v[22:23], v[22:23], v[18:19]
	v_fmac_f64_e32 v[20:21], v[20:21], v[24:25]
	v_fmac_f64_e32 v[22:23], v[26:27], v[20:21]
	v_fma_f64 v[24:25], -v[22:23], v[22:23], v[18:19]
	v_mov_b32_e32 v1, 0xffffff80
	v_fmac_f64_e32 v[22:23], v[24:25], v[20:21]
	v_cndmask_b32_e32 v1, 0, v1, vcc
	v_ldexp_f64 v[20:21], v[22:23], v1
	v_mov_b32_e32 v1, 0x260
	v_cmp_class_f64_e32 vcc, v[18:19], v1
	v_mul_f64 v[16:17], v[16:17], 0.5
	v_cndmask_b32_e32 v19, v21, v19, vcc
	v_cndmask_b32_e32 v18, v20, v18, vcc
	v_div_scale_f64 v[20:21], s[10:11], v[18:19], v[18:19], v[16:17]
	v_rcp_f64_e32 v[22:23], v[20:21]
	v_fma_f64 v[24:25], -v[20:21], v[22:23], 1.0
	v_fmac_f64_e32 v[22:23], v[22:23], v[24:25]
	v_fma_f64 v[24:25], -v[20:21], v[22:23], 1.0
	v_fmac_f64_e32 v[22:23], v[22:23], v[24:25]
	v_div_scale_f64 v[24:25], vcc, v[16:17], v[18:19], v[16:17]
	v_mul_f64 v[26:27], v[24:25], v[22:23]
	v_fma_f64 v[20:21], -v[20:21], v[26:27], v[24:25]
	s_nop 1
	v_div_fmas_f64 v[20:21], v[20:21], v[22:23], v[26:27]
	v_div_fixup_f64 v[16:17], v[20:21], v[18:19], v[16:17]
.LBB7_108:
	s_or_b64 exec, exec, s[8:9]
.LBB7_109:
	s_or_b64 exec, exec, s[6:7]
.LBB7_110:
	s_or_b64 exec, exec, s[4:5]
	global_load_dwordx2 v[8:9], v8, s[2:3]
	s_waitcnt vmcnt(0)
	v_cmp_neq_f64_e32 vcc, 0, v[8:9]
	s_and_saveexec_b64 s[2:3], vcc
	s_cbranch_execz .LBB7_122
; %bb.111:
	v_mov_b32_e32 v14, 0
	v_cmp_ngt_f64_e32 vcc, 0, v[8:9]
	v_mov_b32_e32 v15, 0x7ff80000
	s_and_saveexec_b64 s[4:5], vcc
	s_cbranch_execz .LBB7_121
; %bb.112:
	v_cmp_ge_f64_e32 vcc, 2.0, v[8:9]
                                        ; implicit-def: $vgpr14_vgpr15
	s_and_saveexec_b64 s[6:7], vcc
	s_xor_b64 s[6:7], exec, s[6:7]
	s_cbranch_execz .LBB7_118
; %bb.113:
	s_mov_b32 s8, 0
	s_mov_b32 s9, 0x40200000
	v_mul_f64 v[14:15], v[8:9], 0.5
	v_cmp_ge_f64_e32 vcc, s[8:9], v[8:9]
                                        ; implicit-def: $vgpr20_vgpr21
                                        ; implicit-def: $vgpr18_vgpr19
	s_and_saveexec_b64 s[8:9], vcc
	s_xor_b64 s[8:9], exec, s[8:9]
	s_cbranch_execz .LBB7_115
; %bb.114:
	s_mov_b32 s10, 0x2134d0ef
	v_add_f64 v[18:19], v[14:15], -2.0
	v_mov_b32_e32 v20, 0x977da589
	v_mov_b32_e32 v21, 0x3c833362
	s_mov_b32 s11, 0xbc545cb7
	v_fmac_f64_e32 v[20:21], s[10:11], v[18:19]
	v_mov_b32_e32 v22, 0x2134d0ef
	v_mov_b32_e32 v23, 0x3c545cb7
	s_mov_b32 s10, 0x721ebbb4
	v_fmac_f64_e32 v[22:23], v[18:19], v[20:21]
	s_mov_b32 s11, 0xbcb184eb
	v_add_f64 v[22:23], v[22:23], s[10:11]
	s_mov_b32 s10, 0x93f65eba
	v_fma_f64 v[20:21], v[18:19], v[22:23], -v[20:21]
	s_mov_b32 s11, 0x3cdee6d8
	v_add_f64 v[20:21], v[20:21], s[10:11]
	s_mov_b32 s10, 0xc297fbeb
	v_fma_f64 v[22:23], v[18:19], v[20:21], -v[22:23]
	;; [unrolled: 4-line block ×27, first 2 shown]
	s_mov_b32 s11, 0x3fe5a84e
	v_add_f64 v[22:23], v[18:19], s[10:11]
	s_mov_b32 s10, 0x652b82fe
	s_mov_b32 s11, 0x3ff71547
	v_mul_f64 v[18:19], v[8:9], s[10:11]
	s_mov_b32 s10, 0xfefa39ef
	v_rndne_f64_e32 v[18:19], v[18:19]
	s_mov_b32 s11, 0xbfe62e42
	v_fma_f64 v[24:25], s[10:11], v[18:19], v[8:9]
	s_mov_b32 s10, 0x3b39803f
	s_mov_b32 s11, 0xbc7abc9e
	v_fmac_f64_e32 v[24:25], s[10:11], v[18:19]
	s_mov_b32 s10, 0x6a5dcb37
	v_mov_b32_e32 v26, 0xfca7ab0c
	v_mov_b32_e32 v27, 0x3e928af3
	s_mov_b32 s11, 0x3e5ade15
	v_fmac_f64_e32 v[26:27], s[10:11], v[24:25]
	v_mov_b32_e32 v28, 0x623fde64
	v_mov_b32_e32 v29, 0x3ec71dee
	v_fmac_f64_e32 v[28:29], v[24:25], v[26:27]
	v_mov_b32_e32 v26, 0x7c89e6b0
	v_mov_b32_e32 v27, 0x3efa0199
	;; [unrolled: 3-line block ×8, first 2 shown]
	v_fmac_f64_e32 v[26:27], v[24:25], v[28:29]
	v_fma_f64 v[26:27], v[24:25], v[26:27], 1.0
	s_mov_b32 s10, 0
	v_fma_f64 v[24:25], v[24:25], v[26:27], 1.0
	v_cvt_i32_f64_e32 v1, v[18:19]
	s_mov_b32 s11, 0x40900000
	v_ldexp_f64 v[18:19], v[24:25], v1
	v_mov_b32_e32 v1, 0x7ff00000
	v_cmp_nlt_f64_e32 vcc, s[10:11], v[8:9]
	v_add_f64 v[20:21], v[22:23], -v[20:21]
	v_cndmask_b32_e32 v19, v1, v19, vcc
	v_cndmask_b32_e32 v18, 0, v18, vcc
	v_mul_f64 v[20:21], v[20:21], 0.5
	v_mul_f64 v[20:21], v[18:19], v[20:21]
.LBB7_115:
	s_andn2_saveexec_b64 s[8:9], s[8:9]
	s_cbranch_execz .LBB7_117
; %bb.116:
	s_mov_b32 s10, 0
	s_mov_b32 s11, 0x40400000
	v_div_scale_f64 v[18:19], s[12:13], v[8:9], v[8:9], s[10:11]
	v_rcp_f64_e32 v[20:21], v[18:19]
	v_mov_b32_e32 v26, 0xfca7ab0c
	v_mov_b32_e32 v27, 0x3e928af3
	;; [unrolled: 1-line block ×3, first 2 shown]
	v_fma_f64 v[22:23], -v[18:19], v[20:21], 1.0
	v_fmac_f64_e32 v[20:21], v[20:21], v[22:23]
	v_fma_f64 v[22:23], -v[18:19], v[20:21], 1.0
	v_fmac_f64_e32 v[20:21], v[20:21], v[22:23]
	v_div_scale_f64 v[22:23], vcc, s[10:11], v[8:9], s[10:11]
	v_mul_f64 v[24:25], v[22:23], v[20:21]
	v_fma_f64 v[18:19], -v[18:19], v[24:25], v[22:23]
	v_mov_b32_e32 v22, 0x54ca8b19
	s_nop 0
	v_div_fmas_f64 v[18:19], v[18:19], v[20:21], v[24:25]
	v_div_fixup_f64 v[18:19], v[18:19], v[8:9], s[10:11]
	s_mov_b32 s10, 0x54ca8b19
	v_add_f64 v[18:19], v[18:19], -2.0
	v_mov_b32_e32 v20, 0x66119130
	v_mov_b32_e32 v21, 0xbc5646da
	s_mov_b32 s11, 0xbc60adb7
	v_fmac_f64_e32 v[20:21], s[10:11], v[18:19]
	v_mov_b32_e32 v23, 0x3c60adb7
	s_mov_b32 s10, 0x12d98421
	v_fmac_f64_e32 v[22:23], v[18:19], v[20:21]
	s_mov_b32 s11, 0x3c89be18
	v_add_f64 v[22:23], v[22:23], s[10:11]
	s_mov_b32 s10, 0x76041cd
	v_fma_f64 v[20:21], v[18:19], v[22:23], -v[20:21]
	s_mov_b32 s11, 0x3c83f3dd
	v_add_f64 v[20:21], v[20:21], s[10:11]
	s_mov_b32 s10, 0xabd21fe4
	v_fma_f64 v[22:23], v[18:19], v[20:21], -v[22:23]
	;; [unrolled: 4-line block ×22, first 2 shown]
	s_mov_b32 s11, 0x3fe9be62
	v_add_f64 v[20:21], v[18:19], s[10:11]
	s_mov_b32 s10, 0x652b82fe
	s_mov_b32 s11, 0x3ff71547
	v_mul_f64 v[18:19], v[8:9], s[10:11]
	s_mov_b32 s10, 0xfefa39ef
	v_rndne_f64_e32 v[18:19], v[18:19]
	s_mov_b32 s11, 0xbfe62e42
	v_fma_f64 v[24:25], s[10:11], v[18:19], v[8:9]
	s_mov_b32 s10, 0x3b39803f
	s_mov_b32 s11, 0xbc7abc9e
	v_fmac_f64_e32 v[24:25], s[10:11], v[18:19]
	s_mov_b32 s10, 0x6a5dcb37
	s_mov_b32 s11, 0x3e5ade15
	v_fmac_f64_e32 v[26:27], s[10:11], v[24:25]
	v_mov_b32_e32 v29, 0x3ec71dee
	v_fmac_f64_e32 v[28:29], v[24:25], v[26:27]
	v_mov_b32_e32 v26, 0x7c89e6b0
	v_mov_b32_e32 v27, 0x3efa0199
	v_fmac_f64_e32 v[26:27], v[24:25], v[28:29]
	v_mov_b32_e32 v28, 0x14761f6e
	;; [unrolled: 3-line block ×7, first 2 shown]
	v_mov_b32_e32 v27, 0x3fe00000
	v_fmac_f64_e32 v[26:27], v[24:25], v[28:29]
	s_mov_b32 s10, 0
	v_fma_f64 v[26:27], v[24:25], v[26:27], 1.0
	s_mov_b32 s11, 0x40900000
	v_fma_f64 v[24:25], v[24:25], v[26:27], 1.0
	v_cvt_i32_f64_e32 v1, v[18:19]
	v_cmp_nlt_f64_e32 vcc, s[10:11], v[8:9]
	s_mov_b32 s10, 0
	v_ldexp_f64 v[18:19], v[24:25], v1
	v_mov_b32_e32 v1, 0x7ff00000
	s_brev_b32 s11, 8
	v_cndmask_b32_e32 v19, v1, v19, vcc
	v_cndmask_b32_e32 v18, 0, v18, vcc
	v_cmp_gt_f64_e32 vcc, s[10:11], v[8:9]
	v_cndmask_b32_e64 v1, 0, 1, vcc
	v_lshlrev_b32_e32 v1, 8, v1
	v_ldexp_f64 v[24:25], v[8:9], v1
	v_rsq_f64_e32 v[26:27], v[24:25]
	v_add_f64 v[20:21], v[20:21], -v[22:23]
	v_mov_b32_e32 v1, 0xffffff80
	v_cndmask_b32_e32 v1, 0, v1, vcc
	v_mul_f64 v[22:23], v[24:25], v[26:27]
	v_mul_f64 v[26:27], v[26:27], 0.5
	v_fma_f64 v[28:29], -v[26:27], v[22:23], 0.5
	v_fmac_f64_e32 v[22:23], v[22:23], v[28:29]
	v_fma_f64 v[30:31], -v[22:23], v[22:23], v[24:25]
	v_fmac_f64_e32 v[26:27], v[26:27], v[28:29]
	v_fmac_f64_e32 v[22:23], v[30:31], v[26:27]
	v_fma_f64 v[28:29], -v[22:23], v[22:23], v[24:25]
	v_fmac_f64_e32 v[22:23], v[28:29], v[26:27]
	v_ldexp_f64 v[22:23], v[22:23], v1
	v_mov_b32_e32 v1, 0x260
	v_mul_f64 v[20:21], v[20:21], 0.5
	v_cmp_class_f64_e32 vcc, v[24:25], v1
	v_mul_f64 v[20:21], v[18:19], v[20:21]
	v_cndmask_b32_e32 v23, v23, v25, vcc
	v_cndmask_b32_e32 v22, v22, v24, vcc
	v_div_scale_f64 v[24:25], s[10:11], v[22:23], v[22:23], v[20:21]
	v_rcp_f64_e32 v[26:27], v[24:25]
	v_fma_f64 v[28:29], -v[24:25], v[26:27], 1.0
	v_fmac_f64_e32 v[26:27], v[26:27], v[28:29]
	v_fma_f64 v[28:29], -v[24:25], v[26:27], 1.0
	v_fmac_f64_e32 v[26:27], v[26:27], v[28:29]
	v_div_scale_f64 v[28:29], vcc, v[20:21], v[22:23], v[20:21]
	v_mul_f64 v[30:31], v[28:29], v[26:27]
	v_fma_f64 v[24:25], -v[24:25], v[30:31], v[28:29]
	s_nop 1
	v_div_fmas_f64 v[24:25], v[24:25], v[26:27], v[30:31]
	v_div_fixup_f64 v[20:21], v[24:25], v[22:23], v[20:21]
.LBB7_117:
	s_or_b64 exec, exec, s[8:9]
	s_mov_b32 s8, 0xe6a7fd77
	v_fma_f64 v[8:9], v[8:9], v[8:9], -2.0
	v_mov_b32_e32 v22, 0xc384c2aa
	v_mov_b32_e32 v23, 0x3d27fb0a
	s_mov_b32 s9, 0x3ca3cee1
	v_fmac_f64_e32 v[22:23], s[8:9], v[8:9]
	v_mov_b32_e32 v24, 0xe6a7fd77
	v_mov_b32_e32 v25, 0xbca3cee1
	s_mov_b32 s8, 0x47512144
	v_fmac_f64_e32 v[24:25], v[8:9], v[22:23]
	s_mov_b32 s9, 0x3da6c25c
	v_add_f64 v[24:25], v[24:25], s[8:9]
	s_mov_b32 s8, 0x67e58a13
	v_fma_f64 v[22:23], v[8:9], v[24:25], -v[22:23]
	s_mov_b32 s9, 0x3e205c13
	v_add_f64 v[22:23], v[22:23], s[8:9]
	s_mov_b32 s8, 0xe7f95efc
	v_fma_f64 v[24:25], v[8:9], v[22:23], -v[24:25]
	;; [unrolled: 4-line block ×7, first 2 shown]
	s_mov_b32 s9, 0xbfe12166
	v_add_f64 v[8:9], v[8:9], s[8:9]
	s_mov_b32 s8, 0x55555555
	v_add_f64 v[8:9], v[8:9], -v[22:23]
	v_frexp_mant_f64_e32 v[22:23], v[14:15]
	s_mov_b32 s9, 0x3fe55555
	v_mov_b32_e32 v3, 0x3ff00000
	v_cmp_gt_f64_e32 vcc, s[8:9], v[22:23]
	v_cndmask_b32_e64 v25, v3, 2.0, vcc
	v_mov_b32_e32 v24, 0
	v_mul_f64 v[22:23], v[22:23], v[24:25]
	v_add_f64 v[24:25], v[22:23], 1.0
	v_rcp_f64_e32 v[26:27], v[24:25]
	v_add_f64 v[30:31], v[24:25], -1.0
	v_add_f64 v[28:29], v[22:23], -1.0
	v_add_f64 v[22:23], v[22:23], -v[30:31]
	v_fma_f64 v[30:31], -v[24:25], v[26:27], 1.0
	v_fmac_f64_e32 v[26:27], v[30:31], v[26:27]
	v_fma_f64 v[30:31], -v[24:25], v[26:27], 1.0
	v_fmac_f64_e32 v[26:27], v[30:31], v[26:27]
	v_mul_f64 v[30:31], v[28:29], v[26:27]
	v_mul_f64 v[32:33], v[24:25], v[30:31]
	v_fma_f64 v[24:25], v[30:31], v[24:25], -v[32:33]
	v_fmac_f64_e32 v[24:25], v[30:31], v[22:23]
	v_add_f64 v[22:23], v[32:33], v[24:25]
	v_add_f64 v[34:35], v[28:29], -v[22:23]
	v_add_f64 v[32:33], v[22:23], -v[32:33]
	v_add_f64 v[28:29], v[28:29], -v[34:35]
	v_add_f64 v[22:23], v[28:29], -v[22:23]
	v_add_f64 v[24:25], v[32:33], -v[24:25]
	v_add_f64 v[22:23], v[24:25], v[22:23]
	v_add_f64 v[22:23], v[34:35], v[22:23]
	v_mul_f64 v[22:23], v[26:27], v[22:23]
	v_add_f64 v[24:25], v[30:31], v[22:23]
	v_add_f64 v[26:27], v[24:25], -v[30:31]
	s_mov_b32 s8, 0xbf559e2b
	v_add_f64 v[22:23], v[22:23], -v[26:27]
	v_mul_f64 v[26:27], v[24:25], v[24:25]
	v_mov_b32_e32 v28, 0x6b47b09a
	v_mov_b32_e32 v29, 0x3fc38538
	s_mov_b32 s9, 0x3fc3ab76
	v_fmac_f64_e32 v[28:29], s[8:9], v[26:27]
	v_mov_b32_e32 v30, 0xd7f4df2e
	v_mov_b32_e32 v31, 0x3fc7474d
	v_fmac_f64_e32 v[30:31], v[26:27], v[28:29]
	v_mov_b32_e32 v28, 0x16291751
	v_mov_b32_e32 v29, 0x3fcc71c0
	;; [unrolled: 3-line block ×5, first 2 shown]
	v_fmac_f64_e32 v[30:31], v[26:27], v[28:29]
	v_ldexp_f64 v[28:29], v[24:25], 1
	v_mul_f64 v[24:25], v[24:25], v[26:27]
	v_mul_f64 v[24:25], v[24:25], v[30:31]
	v_add_f64 v[26:27], v[28:29], v[24:25]
	v_add_f64 v[28:29], v[26:27], -v[28:29]
	v_ldexp_f64 v[22:23], v[22:23], 1
	v_add_f64 v[24:25], v[24:25], -v[28:29]
	v_add_f64 v[22:23], v[22:23], v[24:25]
	v_frexp_exp_i32_f64_e32 v1, v[14:15]
	v_add_f64 v[24:25], v[26:27], v[22:23]
	v_subbrev_co_u32_e32 v1, vcc, 0, v1, vcc
	v_add_f64 v[26:27], v[24:25], -v[26:27]
	s_mov_b32 s8, 0xfefa39ef
	v_add_f64 v[22:23], v[22:23], -v[26:27]
	v_cvt_f64_i32_e32 v[26:27], v1
	s_mov_b32 s9, 0x3fe62e42
	v_mul_f64 v[28:29], v[26:27], s[8:9]
	v_fma_f64 v[30:31], v[26:27], s[8:9], -v[28:29]
	s_mov_b32 s8, 0x3b39803f
	s_mov_b32 s9, 0x3c7abc9e
	v_fmac_f64_e32 v[30:31], s[8:9], v[26:27]
	v_add_f64 v[26:27], v[28:29], v[30:31]
	v_add_f64 v[28:29], v[26:27], -v[28:29]
	v_add_f64 v[28:29], v[30:31], -v[28:29]
	v_add_f64 v[30:31], v[26:27], v[24:25]
	v_add_f64 v[32:33], v[30:31], -v[26:27]
	v_add_f64 v[34:35], v[30:31], -v[32:33]
	;; [unrolled: 1-line block ×4, first 2 shown]
	v_add_f64 v[24:25], v[24:25], v[26:27]
	v_add_f64 v[26:27], v[28:29], v[22:23]
	v_add_f64 v[32:33], v[26:27], -v[28:29]
	v_add_f64 v[34:35], v[26:27], -v[32:33]
	v_add_f64 v[24:25], v[26:27], v[24:25]
	v_add_f64 v[28:29], v[28:29], -v[34:35]
	v_add_f64 v[22:23], v[22:23], -v[32:33]
	v_add_f64 v[26:27], v[30:31], v[24:25]
	v_add_f64 v[22:23], v[22:23], v[28:29]
	v_add_f64 v[28:29], v[26:27], -v[30:31]
	v_add_f64 v[24:25], v[24:25], -v[28:29]
	s_mov_b32 s8, 0
	v_add_f64 v[22:23], v[22:23], v[24:25]
	s_mov_b32 s9, 0x7ff00000
	v_add_f64 v[22:23], v[26:27], v[22:23]
	v_cmp_eq_f64_e32 vcc, s[8:9], v[14:15]
	v_cndmask_b32_e32 v1, v22, v14, vcc
	v_cndmask_b32_e32 v3, v23, v15, vcc
	v_mov_b32_e32 v5, 0xfff00000
	v_cmp_neq_f64_e32 vcc, 0, v[14:15]
	v_cndmask_b32_e32 v15, v5, v3, vcc
	v_cndmask_b32_e32 v14, 0, v1, vcc
	v_mul_f64 v[14:15], v[14:15], v[20:21]
	v_fma_f64 v[8:9], v[8:9], 0.5, -v[14:15]
	v_mul_f64 v[14:15], v[18:19], v[8:9]
                                        ; implicit-def: $vgpr8_vgpr9
.LBB7_118:
	s_andn2_saveexec_b64 s[6:7], s[6:7]
	s_cbranch_execz .LBB7_120
; %bb.119:
	s_mov_b32 s8, 0
	s_mov_b32 s9, 0x40200000
	v_div_scale_f64 v[14:15], s[10:11], v[8:9], v[8:9], s[8:9]
	v_rcp_f64_e32 v[18:19], v[14:15]
	s_mov_b32 s10, 0
	s_brev_b32 s11, 8
	v_fma_f64 v[20:21], -v[14:15], v[18:19], 1.0
	v_fmac_f64_e32 v[18:19], v[18:19], v[20:21]
	v_fma_f64 v[20:21], -v[14:15], v[18:19], 1.0
	v_fmac_f64_e32 v[18:19], v[18:19], v[20:21]
	v_div_scale_f64 v[20:21], vcc, s[8:9], v[8:9], s[8:9]
	v_mul_f64 v[22:23], v[20:21], v[18:19]
	v_fma_f64 v[14:15], -v[14:15], v[22:23], v[20:21]
	v_mov_b32_e32 v20, 0xcf8c9ee1
	s_nop 0
	v_div_fmas_f64 v[14:15], v[14:15], v[18:19], v[22:23]
	v_div_fixup_f64 v[14:15], v[14:15], v[8:9], s[8:9]
	s_mov_b32 s8, 0xcf8c9ee1
	v_add_f64 v[14:15], v[14:15], -2.0
	v_mov_b32_e32 v18, 0x93812603
	v_mov_b32_e32 v19, 0xbc72fecc
	s_mov_b32 s9, 0x3c5871a5
	v_fmac_f64_e32 v[18:19], s[8:9], v[14:15]
	v_mov_b32_e32 v21, 0xbc5871a5
	s_mov_b32 s8, 0x41a8cdf4
	v_fmac_f64_e32 v[20:21], v[14:15], v[18:19]
	s_mov_b32 s9, 0x3c8e092e
	v_add_f64 v[20:21], v[20:21], s[8:9]
	s_mov_b32 s8, 0x74d77641
	v_fma_f64 v[18:19], v[14:15], v[20:21], -v[18:19]
	s_mov_b32 s9, 0xbca82f94
	v_add_f64 v[18:19], v[18:19], s[8:9]
	s_mov_b32 s8, 0x6b94785b
	v_fma_f64 v[20:21], v[14:15], v[18:19], -v[20:21]
	;; [unrolled: 4-line block ×20, first 2 shown]
	s_mov_b32 s9, 0x3f59b891
	v_cmp_gt_f64_e32 vcc, s[10:11], v[8:9]
	v_add_f64 v[20:21], v[20:21], s[8:9]
	s_mov_b32 s8, 0x2d4ff71e
	v_cndmask_b32_e64 v1, 0, 1, vcc
	v_fma_f64 v[18:19], v[14:15], v[20:21], -v[18:19]
	s_mov_b32 s9, 0xbfa019f7
	v_lshlrev_b32_e32 v1, 8, v1
	v_add_f64 v[18:19], v[18:19], s[8:9]
	v_ldexp_f64 v[8:9], v[8:9], v1
	v_fma_f64 v[14:15], v[14:15], v[18:19], -v[20:21]
	v_rsq_f64_e32 v[18:19], v[8:9]
	s_mov_b32 s8, 0x9f4e6907
	s_mov_b32 s9, 0x400385bd
	v_add_f64 v[14:15], v[14:15], s[8:9]
	v_add_f64 v[14:15], v[14:15], -v[20:21]
	v_mul_f64 v[20:21], v[8:9], v[18:19]
	v_mul_f64 v[18:19], v[18:19], 0.5
	v_fma_f64 v[22:23], -v[18:19], v[20:21], 0.5
	v_fmac_f64_e32 v[20:21], v[20:21], v[22:23]
	v_fma_f64 v[24:25], -v[20:21], v[20:21], v[8:9]
	v_fmac_f64_e32 v[18:19], v[18:19], v[22:23]
	v_fmac_f64_e32 v[20:21], v[24:25], v[18:19]
	v_fma_f64 v[22:23], -v[20:21], v[20:21], v[8:9]
	v_mov_b32_e32 v1, 0xffffff80
	v_fmac_f64_e32 v[20:21], v[22:23], v[18:19]
	v_cndmask_b32_e32 v1, 0, v1, vcc
	v_ldexp_f64 v[18:19], v[20:21], v1
	v_mov_b32_e32 v1, 0x260
	v_cmp_class_f64_e32 vcc, v[8:9], v1
	v_mul_f64 v[14:15], v[14:15], 0.5
	v_cndmask_b32_e32 v9, v19, v9, vcc
	v_cndmask_b32_e32 v8, v18, v8, vcc
	v_div_scale_f64 v[18:19], s[8:9], v[8:9], v[8:9], v[14:15]
	v_rcp_f64_e32 v[20:21], v[18:19]
	v_fma_f64 v[22:23], -v[18:19], v[20:21], 1.0
	v_fmac_f64_e32 v[20:21], v[20:21], v[22:23]
	v_fma_f64 v[22:23], -v[18:19], v[20:21], 1.0
	v_fmac_f64_e32 v[20:21], v[20:21], v[22:23]
	v_div_scale_f64 v[22:23], vcc, v[14:15], v[8:9], v[14:15]
	v_mul_f64 v[24:25], v[22:23], v[20:21]
	v_fma_f64 v[18:19], -v[18:19], v[24:25], v[22:23]
	s_nop 1
	v_div_fmas_f64 v[18:19], v[18:19], v[20:21], v[24:25]
	v_div_fixup_f64 v[14:15], v[18:19], v[8:9], v[14:15]
.LBB7_120:
	s_or_b64 exec, exec, s[6:7]
.LBB7_121:
	s_or_b64 exec, exec, s[4:5]
.LBB7_122:
	s_or_b64 exec, exec, s[2:3]
	global_store_dwordx2 v0, v[12:13], s[0:1]
	global_store_dwordx2 v2, v[10:11], s[0:1]
	global_store_dwordx2 v4, v[16:17], s[0:1]
	global_store_dwordx2 v6, v[14:15], s[0:1]
	s_endpgm
.LBB7_123:
	s_mov_b32 s51, s50
	v_pk_mov_b32 v[0:1], s[50:51], s[50:51] op_sel:[0,1]
                                        ; implicit-def: $vgpr2
	v_mov_b32_e32 v3, v12
.LBB7_124:
	s_and_b32 s12, s59, 3
	s_cmp_eq_u32 s12, 0
	s_cbranch_scc1 .LBB7_128
; %bb.125:
	s_lshl_b32 s8, s50, 3
	s_add_u32 s8, s8, s4
	s_addc_u32 s9, s5, 0
	s_add_u32 s8, s8, 0xc4
	s_addc_u32 s9, s9, 0
	s_mul_i32 s10, s50, 12
	s_add_u32 s10, s4, s10
	s_addc_u32 s11, s5, 0
.LBB7_126:                              ; =>This Inner Loop Header: Depth=1
	s_load_dwordx2 s[14:15], s[10:11], 0x4
	s_load_dword s13, s[10:11], 0xc
	s_load_dwordx2 s[16:17], s[8:9], 0x0
	v_mov_b32_e32 v2, v1
	s_add_u32 s10, s10, 12
	s_waitcnt lgkmcnt(0)
	v_mul_hi_u32 v1, s15, v3
	v_add_u32_e32 v1, v3, v1
	v_lshrrev_b32_e32 v1, s13, v1
	s_addc_u32 s11, s11, 0
	v_mul_lo_u32 v4, v1, s14
	s_add_u32 s8, s8, 8
	v_sub_u32_e32 v6, v3, v4
	v_mov_b32_e32 v3, v1
	s_addc_u32 s9, s9, 0
	s_add_i32 s12, s12, -1
	v_mad_u64_u32 v[4:5], s[14:15], v6, s17, v[2:3]
	v_mad_u64_u32 v[0:1], s[14:15], v6, s16, v[0:1]
	s_cmp_lg_u32 s12, 0
	v_mov_b32_e32 v1, v4
	s_cbranch_scc1 .LBB7_126
; %bb.127:
	v_mov_b32_e32 v2, v1
.LBB7_128:
	s_cbranch_execnz .LBB7_131
.LBB7_129:
	s_waitcnt lgkmcnt(0)
	v_mul_hi_u32 v0, s29, v12
	v_add_u32_e32 v0, v12, v0
	v_lshrrev_b32_e32 v1, s30, v0
	v_mul_lo_u32 v0, v1, s28
	v_sub_u32_e32 v0, v12, v0
	v_mul_lo_u32 v2, v0, s25
	s_andn2_b64 vcc, exec, s[42:43]
	v_mul_lo_u32 v0, v0, s24
	s_cbranch_vccnz .LBB7_131
; %bb.130:
	v_mul_hi_u32 v3, s40, v1
	v_add_u32_e32 v3, v1, v3
	v_lshrrev_b32_e32 v3, s41, v3
	v_mul_lo_u32 v3, v3, s31
	v_sub_u32_e32 v3, v1, v3
	v_mad_u64_u32 v[0:1], s[8:9], v3, s26, v[0:1]
	v_mad_u64_u32 v[2:3], s[8:9], v3, s27, v[2:3]
.LBB7_131:
	s_waitcnt lgkmcnt(0)
	global_load_dwordx2 v[2:3], v2, s[2:3]
	v_mov_b32_e32 v4, 0
	v_mov_b32_e32 v5, 0x7ff00000
	s_waitcnt vmcnt(0)
	v_cmp_neq_f64_e32 vcc, 0, v[2:3]
	s_and_saveexec_b64 s[8:9], vcc
	s_cbranch_execz .LBB7_143
; %bb.132:
	v_mov_b32_e32 v4, 0
	v_cmp_ngt_f64_e32 vcc, 0, v[2:3]
	v_mov_b32_e32 v5, 0x7ff80000
	s_and_saveexec_b64 s[10:11], vcc
	s_cbranch_execz .LBB7_142
; %bb.133:
	v_cmp_ge_f64_e32 vcc, 2.0, v[2:3]
                                        ; implicit-def: $vgpr4_vgpr5
	s_and_saveexec_b64 s[12:13], vcc
	s_xor_b64 s[12:13], exec, s[12:13]
	s_cbranch_execz .LBB7_139
; %bb.134:
	s_mov_b32 s14, 0
	s_mov_b32 s15, 0x40200000
	v_mul_f64 v[4:5], v[2:3], 0.5
	v_cmp_ge_f64_e32 vcc, s[14:15], v[2:3]
                                        ; implicit-def: $vgpr8_vgpr9
                                        ; implicit-def: $vgpr6_vgpr7
	s_and_saveexec_b64 s[14:15], vcc
	s_xor_b64 s[14:15], exec, s[14:15]
	s_cbranch_execz .LBB7_136
; %bb.135:
	s_mov_b32 s16, 0x2134d0ef
	v_add_f64 v[6:7], v[4:5], -2.0
	v_mov_b32_e32 v8, 0x977da589
	v_mov_b32_e32 v9, 0x3c833362
	s_mov_b32 s17, 0xbc545cb7
	v_fmac_f64_e32 v[8:9], s[16:17], v[6:7]
	v_mov_b32_e32 v10, 0x2134d0ef
	v_mov_b32_e32 v11, 0x3c545cb7
	s_mov_b32 s16, 0x721ebbb4
	v_fmac_f64_e32 v[10:11], v[6:7], v[8:9]
	s_mov_b32 s17, 0xbcb184eb
	v_add_f64 v[10:11], v[10:11], s[16:17]
	s_mov_b32 s16, 0x93f65eba
	v_fma_f64 v[8:9], v[6:7], v[10:11], -v[8:9]
	s_mov_b32 s17, 0x3cdee6d8
	v_add_f64 v[8:9], v[8:9], s[16:17]
	s_mov_b32 s16, 0xc297fbeb
	v_fma_f64 v[10:11], v[6:7], v[8:9], -v[10:11]
	;; [unrolled: 4-line block ×27, first 2 shown]
	s_mov_b32 s17, 0x3fe5a84e
	v_add_f64 v[10:11], v[6:7], s[16:17]
	s_mov_b32 s16, 0x652b82fe
	s_mov_b32 s17, 0x3ff71547
	v_mul_f64 v[6:7], v[2:3], s[16:17]
	s_mov_b32 s16, 0xfefa39ef
	v_rndne_f64_e32 v[6:7], v[6:7]
	s_mov_b32 s17, 0xbfe62e42
	v_fma_f64 v[14:15], s[16:17], v[6:7], v[2:3]
	s_mov_b32 s16, 0x3b39803f
	s_mov_b32 s17, 0xbc7abc9e
	v_fmac_f64_e32 v[14:15], s[16:17], v[6:7]
	s_mov_b32 s16, 0x6a5dcb37
	v_mov_b32_e32 v16, 0xfca7ab0c
	v_mov_b32_e32 v17, 0x3e928af3
	s_mov_b32 s17, 0x3e5ade15
	v_fmac_f64_e32 v[16:17], s[16:17], v[14:15]
	v_mov_b32_e32 v18, 0x623fde64
	v_mov_b32_e32 v19, 0x3ec71dee
	v_fmac_f64_e32 v[18:19], v[14:15], v[16:17]
	v_mov_b32_e32 v16, 0x7c89e6b0
	v_mov_b32_e32 v17, 0x3efa0199
	;; [unrolled: 3-line block ×8, first 2 shown]
	v_fmac_f64_e32 v[16:17], v[14:15], v[18:19]
	v_fma_f64 v[16:17], v[14:15], v[16:17], 1.0
	s_mov_b32 s16, 0
	v_fma_f64 v[14:15], v[14:15], v[16:17], 1.0
	v_cvt_i32_f64_e32 v1, v[6:7]
	s_mov_b32 s17, 0x40900000
	v_ldexp_f64 v[6:7], v[14:15], v1
	v_mov_b32_e32 v1, 0x7ff00000
	v_cmp_nlt_f64_e32 vcc, s[16:17], v[2:3]
	v_add_f64 v[8:9], v[10:11], -v[8:9]
	v_cndmask_b32_e32 v7, v1, v7, vcc
	v_cndmask_b32_e32 v6, 0, v6, vcc
	v_mul_f64 v[8:9], v[8:9], 0.5
	v_mul_f64 v[8:9], v[6:7], v[8:9]
.LBB7_136:
	s_andn2_saveexec_b64 s[14:15], s[14:15]
	s_cbranch_execz .LBB7_138
; %bb.137:
	s_mov_b32 s16, 0
	s_mov_b32 s17, 0x40400000
	v_div_scale_f64 v[6:7], s[18:19], v[2:3], v[2:3], s[16:17]
	v_rcp_f64_e32 v[8:9], v[6:7]
	v_mov_b32_e32 v16, 0xfca7ab0c
	v_mov_b32_e32 v17, 0x3e928af3
	;; [unrolled: 1-line block ×3, first 2 shown]
	v_fma_f64 v[10:11], -v[6:7], v[8:9], 1.0
	v_fmac_f64_e32 v[8:9], v[8:9], v[10:11]
	v_fma_f64 v[10:11], -v[6:7], v[8:9], 1.0
	v_fmac_f64_e32 v[8:9], v[8:9], v[10:11]
	v_div_scale_f64 v[10:11], vcc, s[16:17], v[2:3], s[16:17]
	v_mul_f64 v[14:15], v[10:11], v[8:9]
	v_fma_f64 v[6:7], -v[6:7], v[14:15], v[10:11]
	v_mov_b32_e32 v10, 0x54ca8b19
	s_nop 0
	v_div_fmas_f64 v[6:7], v[6:7], v[8:9], v[14:15]
	v_div_fixup_f64 v[6:7], v[6:7], v[2:3], s[16:17]
	s_mov_b32 s16, 0x54ca8b19
	v_add_f64 v[6:7], v[6:7], -2.0
	v_mov_b32_e32 v8, 0x66119130
	v_mov_b32_e32 v9, 0xbc5646da
	s_mov_b32 s17, 0xbc60adb7
	v_fmac_f64_e32 v[8:9], s[16:17], v[6:7]
	v_mov_b32_e32 v11, 0x3c60adb7
	s_mov_b32 s16, 0x12d98421
	v_fmac_f64_e32 v[10:11], v[6:7], v[8:9]
	s_mov_b32 s17, 0x3c89be18
	v_add_f64 v[10:11], v[10:11], s[16:17]
	s_mov_b32 s16, 0x76041cd
	v_fma_f64 v[8:9], v[6:7], v[10:11], -v[8:9]
	s_mov_b32 s17, 0x3c83f3dd
	v_add_f64 v[8:9], v[8:9], s[16:17]
	s_mov_b32 s16, 0xabd21fe4
	v_fma_f64 v[10:11], v[6:7], v[8:9], -v[10:11]
	;; [unrolled: 4-line block ×22, first 2 shown]
	s_mov_b32 s17, 0x3fe9be62
	v_add_f64 v[8:9], v[6:7], s[16:17]
	s_mov_b32 s16, 0x652b82fe
	s_mov_b32 s17, 0x3ff71547
	v_mul_f64 v[6:7], v[2:3], s[16:17]
	s_mov_b32 s16, 0xfefa39ef
	v_rndne_f64_e32 v[6:7], v[6:7]
	s_mov_b32 s17, 0xbfe62e42
	v_fma_f64 v[14:15], s[16:17], v[6:7], v[2:3]
	s_mov_b32 s16, 0x3b39803f
	s_mov_b32 s17, 0xbc7abc9e
	v_fmac_f64_e32 v[14:15], s[16:17], v[6:7]
	s_mov_b32 s16, 0x6a5dcb37
	s_mov_b32 s17, 0x3e5ade15
	v_fmac_f64_e32 v[16:17], s[16:17], v[14:15]
	v_mov_b32_e32 v19, 0x3ec71dee
	v_fmac_f64_e32 v[18:19], v[14:15], v[16:17]
	v_mov_b32_e32 v16, 0x7c89e6b0
	v_mov_b32_e32 v17, 0x3efa0199
	v_fmac_f64_e32 v[16:17], v[14:15], v[18:19]
	v_mov_b32_e32 v18, 0x14761f6e
	;; [unrolled: 3-line block ×7, first 2 shown]
	v_mov_b32_e32 v17, 0x3fe00000
	v_fmac_f64_e32 v[16:17], v[14:15], v[18:19]
	s_mov_b32 s16, 0
	v_fma_f64 v[16:17], v[14:15], v[16:17], 1.0
	s_mov_b32 s17, 0x40900000
	v_fma_f64 v[14:15], v[14:15], v[16:17], 1.0
	v_cvt_i32_f64_e32 v1, v[6:7]
	v_cmp_nlt_f64_e32 vcc, s[16:17], v[2:3]
	s_mov_b32 s16, 0
	v_ldexp_f64 v[6:7], v[14:15], v1
	v_mov_b32_e32 v1, 0x7ff00000
	s_brev_b32 s17, 8
	v_cndmask_b32_e32 v7, v1, v7, vcc
	v_cndmask_b32_e32 v6, 0, v6, vcc
	v_cmp_gt_f64_e32 vcc, s[16:17], v[2:3]
	v_cndmask_b32_e64 v1, 0, 1, vcc
	v_lshlrev_b32_e32 v1, 8, v1
	v_ldexp_f64 v[14:15], v[2:3], v1
	v_rsq_f64_e32 v[16:17], v[14:15]
	v_add_f64 v[8:9], v[8:9], -v[10:11]
	v_mov_b32_e32 v1, 0xffffff80
	v_cndmask_b32_e32 v1, 0, v1, vcc
	v_mul_f64 v[10:11], v[14:15], v[16:17]
	v_mul_f64 v[16:17], v[16:17], 0.5
	v_fma_f64 v[18:19], -v[16:17], v[10:11], 0.5
	v_fmac_f64_e32 v[10:11], v[10:11], v[18:19]
	v_fma_f64 v[20:21], -v[10:11], v[10:11], v[14:15]
	v_fmac_f64_e32 v[16:17], v[16:17], v[18:19]
	v_fmac_f64_e32 v[10:11], v[20:21], v[16:17]
	v_fma_f64 v[18:19], -v[10:11], v[10:11], v[14:15]
	v_fmac_f64_e32 v[10:11], v[18:19], v[16:17]
	v_ldexp_f64 v[10:11], v[10:11], v1
	v_mov_b32_e32 v1, 0x260
	v_mul_f64 v[8:9], v[8:9], 0.5
	v_cmp_class_f64_e32 vcc, v[14:15], v1
	v_mul_f64 v[8:9], v[6:7], v[8:9]
	v_cndmask_b32_e32 v11, v11, v15, vcc
	v_cndmask_b32_e32 v10, v10, v14, vcc
	v_div_scale_f64 v[14:15], s[16:17], v[10:11], v[10:11], v[8:9]
	v_rcp_f64_e32 v[16:17], v[14:15]
	v_fma_f64 v[18:19], -v[14:15], v[16:17], 1.0
	v_fmac_f64_e32 v[16:17], v[16:17], v[18:19]
	v_fma_f64 v[18:19], -v[14:15], v[16:17], 1.0
	v_fmac_f64_e32 v[16:17], v[16:17], v[18:19]
	v_div_scale_f64 v[18:19], vcc, v[8:9], v[10:11], v[8:9]
	v_mul_f64 v[20:21], v[18:19], v[16:17]
	v_fma_f64 v[14:15], -v[14:15], v[20:21], v[18:19]
	s_nop 1
	v_div_fmas_f64 v[14:15], v[14:15], v[16:17], v[20:21]
	v_div_fixup_f64 v[8:9], v[14:15], v[10:11], v[8:9]
.LBB7_138:
	s_or_b64 exec, exec, s[14:15]
	s_mov_b32 s14, 0xe6a7fd77
	v_fma_f64 v[2:3], v[2:3], v[2:3], -2.0
	v_mov_b32_e32 v10, 0xc384c2aa
	v_mov_b32_e32 v11, 0x3d27fb0a
	s_mov_b32 s15, 0x3ca3cee1
	v_fmac_f64_e32 v[10:11], s[14:15], v[2:3]
	v_mov_b32_e32 v14, 0xe6a7fd77
	v_mov_b32_e32 v15, 0xbca3cee1
	s_mov_b32 s14, 0x47512144
	v_fmac_f64_e32 v[14:15], v[2:3], v[10:11]
	s_mov_b32 s15, 0x3da6c25c
	v_add_f64 v[14:15], v[14:15], s[14:15]
	s_mov_b32 s14, 0x67e58a13
	v_fma_f64 v[10:11], v[2:3], v[14:15], -v[10:11]
	s_mov_b32 s15, 0x3e205c13
	v_add_f64 v[10:11], v[10:11], s[14:15]
	s_mov_b32 s14, 0xe7f95efc
	v_fma_f64 v[14:15], v[2:3], v[10:11], -v[14:15]
	;; [unrolled: 4-line block ×7, first 2 shown]
	s_mov_b32 s15, 0xbfe12166
	v_add_f64 v[2:3], v[2:3], s[14:15]
	s_mov_b32 s14, 0x55555555
	v_add_f64 v[2:3], v[2:3], -v[10:11]
	v_frexp_mant_f64_e32 v[10:11], v[4:5]
	s_mov_b32 s15, 0x3fe55555
	v_mov_b32_e32 v13, 0x3ff00000
	v_cmp_gt_f64_e32 vcc, s[14:15], v[10:11]
	v_cndmask_b32_e64 v15, v13, 2.0, vcc
	v_mov_b32_e32 v14, 0
	v_mul_f64 v[10:11], v[10:11], v[14:15]
	v_add_f64 v[14:15], v[10:11], 1.0
	v_rcp_f64_e32 v[16:17], v[14:15]
	v_add_f64 v[20:21], v[14:15], -1.0
	v_add_f64 v[18:19], v[10:11], -1.0
	v_add_f64 v[10:11], v[10:11], -v[20:21]
	v_fma_f64 v[20:21], -v[14:15], v[16:17], 1.0
	v_fmac_f64_e32 v[16:17], v[20:21], v[16:17]
	v_fma_f64 v[20:21], -v[14:15], v[16:17], 1.0
	v_fmac_f64_e32 v[16:17], v[20:21], v[16:17]
	v_mul_f64 v[20:21], v[18:19], v[16:17]
	v_mul_f64 v[22:23], v[14:15], v[20:21]
	v_fma_f64 v[14:15], v[20:21], v[14:15], -v[22:23]
	v_fmac_f64_e32 v[14:15], v[20:21], v[10:11]
	v_add_f64 v[10:11], v[22:23], v[14:15]
	v_add_f64 v[24:25], v[18:19], -v[10:11]
	v_add_f64 v[22:23], v[10:11], -v[22:23]
	;; [unrolled: 1-line block ×5, first 2 shown]
	v_add_f64 v[10:11], v[14:15], v[10:11]
	v_add_f64 v[10:11], v[24:25], v[10:11]
	v_mul_f64 v[10:11], v[16:17], v[10:11]
	v_add_f64 v[14:15], v[20:21], v[10:11]
	v_add_f64 v[16:17], v[14:15], -v[20:21]
	s_mov_b32 s14, 0xbf559e2b
	v_add_f64 v[10:11], v[10:11], -v[16:17]
	v_mul_f64 v[16:17], v[14:15], v[14:15]
	v_mov_b32_e32 v18, 0x6b47b09a
	v_mov_b32_e32 v19, 0x3fc38538
	s_mov_b32 s15, 0x3fc3ab76
	v_fmac_f64_e32 v[18:19], s[14:15], v[16:17]
	v_mov_b32_e32 v20, 0xd7f4df2e
	v_mov_b32_e32 v21, 0x3fc7474d
	v_fmac_f64_e32 v[20:21], v[16:17], v[18:19]
	v_mov_b32_e32 v18, 0x16291751
	v_mov_b32_e32 v19, 0x3fcc71c0
	;; [unrolled: 3-line block ×5, first 2 shown]
	v_fmac_f64_e32 v[20:21], v[16:17], v[18:19]
	v_ldexp_f64 v[18:19], v[14:15], 1
	v_mul_f64 v[14:15], v[14:15], v[16:17]
	v_mul_f64 v[14:15], v[14:15], v[20:21]
	v_add_f64 v[16:17], v[18:19], v[14:15]
	v_add_f64 v[18:19], v[16:17], -v[18:19]
	v_ldexp_f64 v[10:11], v[10:11], 1
	v_add_f64 v[14:15], v[14:15], -v[18:19]
	v_add_f64 v[10:11], v[10:11], v[14:15]
	v_frexp_exp_i32_f64_e32 v1, v[4:5]
	v_add_f64 v[14:15], v[16:17], v[10:11]
	v_subbrev_co_u32_e32 v1, vcc, 0, v1, vcc
	v_add_f64 v[16:17], v[14:15], -v[16:17]
	s_mov_b32 s14, 0xfefa39ef
	v_add_f64 v[10:11], v[10:11], -v[16:17]
	v_cvt_f64_i32_e32 v[16:17], v1
	s_mov_b32 s15, 0x3fe62e42
	v_mul_f64 v[18:19], v[16:17], s[14:15]
	v_fma_f64 v[20:21], v[16:17], s[14:15], -v[18:19]
	s_mov_b32 s14, 0x3b39803f
	s_mov_b32 s15, 0x3c7abc9e
	v_fmac_f64_e32 v[20:21], s[14:15], v[16:17]
	v_add_f64 v[16:17], v[18:19], v[20:21]
	v_add_f64 v[18:19], v[16:17], -v[18:19]
	v_add_f64 v[18:19], v[20:21], -v[18:19]
	v_add_f64 v[20:21], v[16:17], v[14:15]
	v_add_f64 v[22:23], v[20:21], -v[16:17]
	v_add_f64 v[24:25], v[20:21], -v[22:23]
	;; [unrolled: 1-line block ×4, first 2 shown]
	v_add_f64 v[14:15], v[14:15], v[16:17]
	v_add_f64 v[16:17], v[18:19], v[10:11]
	v_add_f64 v[22:23], v[16:17], -v[18:19]
	v_add_f64 v[24:25], v[16:17], -v[22:23]
	v_add_f64 v[14:15], v[16:17], v[14:15]
	v_add_f64 v[18:19], v[18:19], -v[24:25]
	v_add_f64 v[10:11], v[10:11], -v[22:23]
	v_add_f64 v[16:17], v[20:21], v[14:15]
	v_add_f64 v[10:11], v[10:11], v[18:19]
	v_add_f64 v[18:19], v[16:17], -v[20:21]
	v_add_f64 v[14:15], v[14:15], -v[18:19]
	s_mov_b32 s14, 0
	v_add_f64 v[10:11], v[10:11], v[14:15]
	s_mov_b32 s15, 0x7ff00000
	v_add_f64 v[10:11], v[16:17], v[10:11]
	v_cmp_eq_f64_e32 vcc, s[14:15], v[4:5]
	v_cndmask_b32_e32 v1, v10, v4, vcc
	v_cndmask_b32_e32 v10, v11, v5, vcc
	v_mov_b32_e32 v11, 0xfff00000
	v_cmp_neq_f64_e32 vcc, 0, v[4:5]
	v_cndmask_b32_e32 v5, v11, v10, vcc
	v_cndmask_b32_e32 v4, 0, v1, vcc
	v_mul_f64 v[4:5], v[4:5], v[8:9]
	v_fma_f64 v[2:3], v[2:3], 0.5, -v[4:5]
	v_mul_f64 v[4:5], v[6:7], v[2:3]
                                        ; implicit-def: $vgpr2_vgpr3
.LBB7_139:
	s_andn2_saveexec_b64 s[12:13], s[12:13]
	s_cbranch_execz .LBB7_141
; %bb.140:
	s_mov_b32 s14, 0
	s_mov_b32 s15, 0x40200000
	v_div_scale_f64 v[4:5], s[16:17], v[2:3], v[2:3], s[14:15]
	v_rcp_f64_e32 v[6:7], v[4:5]
	s_mov_b32 s16, 0
	s_brev_b32 s17, 8
	v_fma_f64 v[8:9], -v[4:5], v[6:7], 1.0
	v_fmac_f64_e32 v[6:7], v[6:7], v[8:9]
	v_fma_f64 v[8:9], -v[4:5], v[6:7], 1.0
	v_fmac_f64_e32 v[6:7], v[6:7], v[8:9]
	v_div_scale_f64 v[8:9], vcc, s[14:15], v[2:3], s[14:15]
	v_mul_f64 v[10:11], v[8:9], v[6:7]
	v_fma_f64 v[4:5], -v[4:5], v[10:11], v[8:9]
	v_mov_b32_e32 v8, 0xcf8c9ee1
	s_nop 0
	v_div_fmas_f64 v[4:5], v[4:5], v[6:7], v[10:11]
	v_div_fixup_f64 v[4:5], v[4:5], v[2:3], s[14:15]
	s_mov_b32 s14, 0xcf8c9ee1
	v_add_f64 v[4:5], v[4:5], -2.0
	v_mov_b32_e32 v6, 0x93812603
	v_mov_b32_e32 v7, 0xbc72fecc
	s_mov_b32 s15, 0x3c5871a5
	v_fmac_f64_e32 v[6:7], s[14:15], v[4:5]
	v_mov_b32_e32 v9, 0xbc5871a5
	s_mov_b32 s14, 0x41a8cdf4
	v_fmac_f64_e32 v[8:9], v[4:5], v[6:7]
	s_mov_b32 s15, 0x3c8e092e
	v_add_f64 v[8:9], v[8:9], s[14:15]
	s_mov_b32 s14, 0x74d77641
	v_fma_f64 v[6:7], v[4:5], v[8:9], -v[6:7]
	s_mov_b32 s15, 0xbca82f94
	v_add_f64 v[6:7], v[6:7], s[14:15]
	s_mov_b32 s14, 0x6b94785b
	v_fma_f64 v[8:9], v[4:5], v[6:7], -v[8:9]
	;; [unrolled: 4-line block ×20, first 2 shown]
	s_mov_b32 s15, 0x3f59b891
	v_cmp_gt_f64_e32 vcc, s[16:17], v[2:3]
	v_add_f64 v[8:9], v[8:9], s[14:15]
	s_mov_b32 s14, 0x2d4ff71e
	v_cndmask_b32_e64 v1, 0, 1, vcc
	v_fma_f64 v[6:7], v[4:5], v[8:9], -v[6:7]
	s_mov_b32 s15, 0xbfa019f7
	v_lshlrev_b32_e32 v1, 8, v1
	v_add_f64 v[6:7], v[6:7], s[14:15]
	v_ldexp_f64 v[2:3], v[2:3], v1
	v_fma_f64 v[4:5], v[4:5], v[6:7], -v[8:9]
	v_rsq_f64_e32 v[6:7], v[2:3]
	s_mov_b32 s14, 0x9f4e6907
	s_mov_b32 s15, 0x400385bd
	v_add_f64 v[4:5], v[4:5], s[14:15]
	v_add_f64 v[4:5], v[4:5], -v[8:9]
	v_mul_f64 v[8:9], v[2:3], v[6:7]
	v_mul_f64 v[6:7], v[6:7], 0.5
	v_fma_f64 v[10:11], -v[6:7], v[8:9], 0.5
	v_fmac_f64_e32 v[8:9], v[8:9], v[10:11]
	v_fma_f64 v[14:15], -v[8:9], v[8:9], v[2:3]
	v_fmac_f64_e32 v[6:7], v[6:7], v[10:11]
	v_fmac_f64_e32 v[8:9], v[14:15], v[6:7]
	v_fma_f64 v[10:11], -v[8:9], v[8:9], v[2:3]
	v_mov_b32_e32 v1, 0xffffff80
	v_fmac_f64_e32 v[8:9], v[10:11], v[6:7]
	v_cndmask_b32_e32 v1, 0, v1, vcc
	v_ldexp_f64 v[6:7], v[8:9], v1
	v_mov_b32_e32 v1, 0x260
	v_cmp_class_f64_e32 vcc, v[2:3], v1
	v_mul_f64 v[4:5], v[4:5], 0.5
	v_cndmask_b32_e32 v3, v7, v3, vcc
	v_cndmask_b32_e32 v2, v6, v2, vcc
	v_div_scale_f64 v[6:7], s[14:15], v[2:3], v[2:3], v[4:5]
	v_rcp_f64_e32 v[8:9], v[6:7]
	v_fma_f64 v[10:11], -v[6:7], v[8:9], 1.0
	v_fmac_f64_e32 v[8:9], v[8:9], v[10:11]
	v_fma_f64 v[10:11], -v[6:7], v[8:9], 1.0
	v_fmac_f64_e32 v[8:9], v[8:9], v[10:11]
	v_div_scale_f64 v[10:11], vcc, v[4:5], v[2:3], v[4:5]
	v_mul_f64 v[14:15], v[10:11], v[8:9]
	v_fma_f64 v[6:7], -v[6:7], v[14:15], v[10:11]
	s_nop 1
	v_div_fmas_f64 v[6:7], v[6:7], v[8:9], v[14:15]
	v_div_fixup_f64 v[4:5], v[6:7], v[2:3], v[4:5]
.LBB7_141:
	s_or_b64 exec, exec, s[12:13]
.LBB7_142:
	s_or_b64 exec, exec, s[10:11]
.LBB7_143:
	s_or_b64 exec, exec, s[8:9]
	v_add_u32_e32 v12, 0x80, v12
	global_store_dwordx2 v0, v[4:5], s[0:1]
	s_or_b64 exec, exec, s[48:49]
	v_cmp_gt_i32_e32 vcc, s57, v12
	s_and_saveexec_b64 s[48:49], vcc
	s_cbranch_execnz .LBB7_17
.LBB7_144:
	s_or_b64 exec, exec, s[48:49]
	v_cmp_gt_i32_e32 vcc, s57, v12
	s_and_saveexec_b64 s[48:49], vcc
	s_cbranch_execz .LBB7_173
.LBB7_145:
	s_andn2_b64 vcc, exec, s[6:7]
	s_cbranch_vccnz .LBB7_151
; %bb.146:
	s_mov_b32 s50, 0
	s_andn2_b64 vcc, exec, s[46:47]
	v_mov_b32_e32 v2, 0
	v_mov_b32_e32 v0, 0
	s_cbranch_vccnz .LBB7_181
; %bb.147:
	s_add_i32 s59, s58, 1
	s_cmp_eq_u32 s56, 2
	s_cbranch_scc1 .LBB7_176
; %bb.148:
	s_and_b32 s50, s59, 28
	s_mov_b32 s51, 0
	v_mov_b32_e32 v0, 0
	s_mov_b64 s[52:53], s[4:5]
	s_mov_b64 s[54:55], s[44:45]
	v_mov_b32_e32 v3, v12
	v_mov_b32_e32 v2, 0
.LBB7_149:                              ; =>This Inner Loop Header: Depth=1
	s_load_dwordx8 s[16:23], s[52:53], 0x4
	s_load_dwordx4 s[36:39], s[52:53], 0x24
	s_load_dwordx8 s[8:15], s[54:55], 0x0
	s_add_u32 s52, s52, 48
	s_addc_u32 s53, s53, 0
	s_waitcnt lgkmcnt(0)
	v_mul_hi_u32 v1, s17, v3
	v_add_u32_e32 v1, v3, v1
	v_lshrrev_b32_e32 v1, s18, v1
	v_mul_lo_u32 v4, v1, s16
	v_mul_hi_u32 v5, s20, v1
	v_sub_u32_e32 v3, v3, v4
	v_add_u32_e32 v4, v1, v5
	v_lshrrev_b32_e32 v4, s21, v4
	v_mul_lo_u32 v6, v4, s19
	v_mul_hi_u32 v7, s23, v4
	v_sub_u32_e32 v1, v1, v6
	v_add_u32_e32 v6, v4, v7
	v_mul_lo_u32 v5, v3, s9
	v_mul_lo_u32 v3, v3, s8
	;; [unrolled: 1-line block ×4, first 2 shown]
	v_lshrrev_b32_e32 v6, s36, v6
	v_add3_u32 v0, v3, v0, v1
	v_mul_hi_u32 v3, s38, v6
	v_add_u32_e32 v3, v6, v3
	v_lshrrev_b32_e32 v3, s39, v3
	s_add_i32 s51, s51, 4
	v_add3_u32 v1, v5, v2, v7
	v_mul_lo_u32 v2, v6, s22
	v_mul_lo_u32 v5, v3, s37
	s_add_u32 s54, s54, 32
	v_sub_u32_e32 v2, v4, v2
	v_sub_u32_e32 v5, v6, v5
	s_addc_u32 s55, s55, 0
	v_mul_lo_u32 v4, v2, s12
	v_mul_lo_u32 v2, v2, s13
	v_mul_lo_u32 v6, v5, s14
	v_mul_lo_u32 v5, v5, s15
	s_cmp_eq_u32 s50, s51
	v_add3_u32 v2, v2, v1, v5
	v_add3_u32 v0, v4, v0, v6
	s_cbranch_scc0 .LBB7_149
; %bb.150:
	v_mov_b32_e32 v1, v2
	s_branch .LBB7_177
.LBB7_151:
                                        ; implicit-def: $vgpr2
                                        ; implicit-def: $vgpr0
	s_branch .LBB7_182
.LBB7_152:
	s_mov_b32 s51, s50
	v_pk_mov_b32 v[0:1], s[50:51], s[50:51] op_sel:[0,1]
                                        ; implicit-def: $vgpr2
	v_mov_b32_e32 v3, v12
.LBB7_153:
	s_and_b32 s12, s59, 3
	s_cmp_eq_u32 s12, 0
	s_cbranch_scc1 .LBB7_157
; %bb.154:
	s_lshl_b32 s8, s50, 3
	s_add_u32 s8, s8, s4
	s_addc_u32 s9, s5, 0
	s_add_u32 s8, s8, 0xc4
	s_addc_u32 s9, s9, 0
	s_mul_i32 s10, s50, 12
	s_add_u32 s10, s4, s10
	s_addc_u32 s11, s5, 0
.LBB7_155:                              ; =>This Inner Loop Header: Depth=1
	s_load_dwordx2 s[14:15], s[10:11], 0x4
	s_load_dword s13, s[10:11], 0xc
	s_load_dwordx2 s[16:17], s[8:9], 0x0
	v_mov_b32_e32 v2, v1
	s_add_u32 s10, s10, 12
	s_waitcnt lgkmcnt(0)
	v_mul_hi_u32 v1, s15, v3
	v_add_u32_e32 v1, v3, v1
	v_lshrrev_b32_e32 v1, s13, v1
	s_addc_u32 s11, s11, 0
	v_mul_lo_u32 v4, v1, s14
	s_add_u32 s8, s8, 8
	v_sub_u32_e32 v6, v3, v4
	v_mov_b32_e32 v3, v1
	s_addc_u32 s9, s9, 0
	s_add_i32 s12, s12, -1
	v_mad_u64_u32 v[4:5], s[14:15], v6, s17, v[2:3]
	v_mad_u64_u32 v[0:1], s[14:15], v6, s16, v[0:1]
	s_cmp_lg_u32 s12, 0
	v_mov_b32_e32 v1, v4
	s_cbranch_scc1 .LBB7_155
; %bb.156:
	v_mov_b32_e32 v2, v1
.LBB7_157:
	s_cbranch_execnz .LBB7_160
.LBB7_158:
	s_waitcnt lgkmcnt(0)
	v_mul_hi_u32 v0, s29, v12
	v_add_u32_e32 v0, v12, v0
	v_lshrrev_b32_e32 v1, s30, v0
	v_mul_lo_u32 v0, v1, s28
	v_sub_u32_e32 v0, v12, v0
	v_mul_lo_u32 v2, v0, s25
	s_andn2_b64 vcc, exec, s[42:43]
	v_mul_lo_u32 v0, v0, s24
	s_cbranch_vccnz .LBB7_160
; %bb.159:
	v_mul_hi_u32 v3, s40, v1
	v_add_u32_e32 v3, v1, v3
	v_lshrrev_b32_e32 v3, s41, v3
	v_mul_lo_u32 v3, v3, s31
	v_sub_u32_e32 v3, v1, v3
	v_mad_u64_u32 v[0:1], s[8:9], v3, s26, v[0:1]
	v_mad_u64_u32 v[2:3], s[8:9], v3, s27, v[2:3]
.LBB7_160:
	s_waitcnt lgkmcnt(0)
	global_load_dwordx2 v[2:3], v2, s[2:3]
	v_mov_b32_e32 v4, 0
	v_mov_b32_e32 v5, 0x7ff00000
	s_waitcnt vmcnt(0)
	v_cmp_neq_f64_e32 vcc, 0, v[2:3]
	s_and_saveexec_b64 s[8:9], vcc
	s_cbranch_execz .LBB7_172
; %bb.161:
	v_mov_b32_e32 v4, 0
	v_cmp_ngt_f64_e32 vcc, 0, v[2:3]
	v_mov_b32_e32 v5, 0x7ff80000
	s_and_saveexec_b64 s[10:11], vcc
	s_cbranch_execz .LBB7_171
; %bb.162:
	v_cmp_ge_f64_e32 vcc, 2.0, v[2:3]
                                        ; implicit-def: $vgpr4_vgpr5
	s_and_saveexec_b64 s[12:13], vcc
	s_xor_b64 s[12:13], exec, s[12:13]
	s_cbranch_execz .LBB7_168
; %bb.163:
	s_mov_b32 s14, 0
	s_mov_b32 s15, 0x40200000
	v_mul_f64 v[4:5], v[2:3], 0.5
	v_cmp_ge_f64_e32 vcc, s[14:15], v[2:3]
                                        ; implicit-def: $vgpr8_vgpr9
                                        ; implicit-def: $vgpr6_vgpr7
	s_and_saveexec_b64 s[14:15], vcc
	s_xor_b64 s[14:15], exec, s[14:15]
	s_cbranch_execz .LBB7_165
; %bb.164:
	s_mov_b32 s16, 0x2134d0ef
	v_add_f64 v[6:7], v[4:5], -2.0
	v_mov_b32_e32 v8, 0x977da589
	v_mov_b32_e32 v9, 0x3c833362
	s_mov_b32 s17, 0xbc545cb7
	v_fmac_f64_e32 v[8:9], s[16:17], v[6:7]
	v_mov_b32_e32 v10, 0x2134d0ef
	v_mov_b32_e32 v11, 0x3c545cb7
	s_mov_b32 s16, 0x721ebbb4
	v_fmac_f64_e32 v[10:11], v[6:7], v[8:9]
	s_mov_b32 s17, 0xbcb184eb
	v_add_f64 v[10:11], v[10:11], s[16:17]
	s_mov_b32 s16, 0x93f65eba
	v_fma_f64 v[8:9], v[6:7], v[10:11], -v[8:9]
	s_mov_b32 s17, 0x3cdee6d8
	v_add_f64 v[8:9], v[8:9], s[16:17]
	s_mov_b32 s16, 0xc297fbeb
	v_fma_f64 v[10:11], v[6:7], v[8:9], -v[10:11]
	;; [unrolled: 4-line block ×27, first 2 shown]
	s_mov_b32 s17, 0x3fe5a84e
	v_add_f64 v[10:11], v[6:7], s[16:17]
	s_mov_b32 s16, 0x652b82fe
	s_mov_b32 s17, 0x3ff71547
	v_mul_f64 v[6:7], v[2:3], s[16:17]
	s_mov_b32 s16, 0xfefa39ef
	v_rndne_f64_e32 v[6:7], v[6:7]
	s_mov_b32 s17, 0xbfe62e42
	v_fma_f64 v[14:15], s[16:17], v[6:7], v[2:3]
	s_mov_b32 s16, 0x3b39803f
	s_mov_b32 s17, 0xbc7abc9e
	v_fmac_f64_e32 v[14:15], s[16:17], v[6:7]
	s_mov_b32 s16, 0x6a5dcb37
	v_mov_b32_e32 v16, 0xfca7ab0c
	v_mov_b32_e32 v17, 0x3e928af3
	s_mov_b32 s17, 0x3e5ade15
	v_fmac_f64_e32 v[16:17], s[16:17], v[14:15]
	v_mov_b32_e32 v18, 0x623fde64
	v_mov_b32_e32 v19, 0x3ec71dee
	v_fmac_f64_e32 v[18:19], v[14:15], v[16:17]
	v_mov_b32_e32 v16, 0x7c89e6b0
	v_mov_b32_e32 v17, 0x3efa0199
	;; [unrolled: 3-line block ×8, first 2 shown]
	v_fmac_f64_e32 v[16:17], v[14:15], v[18:19]
	v_fma_f64 v[16:17], v[14:15], v[16:17], 1.0
	s_mov_b32 s16, 0
	v_fma_f64 v[14:15], v[14:15], v[16:17], 1.0
	v_cvt_i32_f64_e32 v1, v[6:7]
	s_mov_b32 s17, 0x40900000
	v_ldexp_f64 v[6:7], v[14:15], v1
	v_mov_b32_e32 v1, 0x7ff00000
	v_cmp_nlt_f64_e32 vcc, s[16:17], v[2:3]
	v_add_f64 v[8:9], v[10:11], -v[8:9]
	v_cndmask_b32_e32 v7, v1, v7, vcc
	v_cndmask_b32_e32 v6, 0, v6, vcc
	v_mul_f64 v[8:9], v[8:9], 0.5
	v_mul_f64 v[8:9], v[6:7], v[8:9]
.LBB7_165:
	s_andn2_saveexec_b64 s[14:15], s[14:15]
	s_cbranch_execz .LBB7_167
; %bb.166:
	s_mov_b32 s16, 0
	s_mov_b32 s17, 0x40400000
	v_div_scale_f64 v[6:7], s[18:19], v[2:3], v[2:3], s[16:17]
	v_rcp_f64_e32 v[8:9], v[6:7]
	v_mov_b32_e32 v16, 0xfca7ab0c
	v_mov_b32_e32 v17, 0x3e928af3
	;; [unrolled: 1-line block ×3, first 2 shown]
	v_fma_f64 v[10:11], -v[6:7], v[8:9], 1.0
	v_fmac_f64_e32 v[8:9], v[8:9], v[10:11]
	v_fma_f64 v[10:11], -v[6:7], v[8:9], 1.0
	v_fmac_f64_e32 v[8:9], v[8:9], v[10:11]
	v_div_scale_f64 v[10:11], vcc, s[16:17], v[2:3], s[16:17]
	v_mul_f64 v[14:15], v[10:11], v[8:9]
	v_fma_f64 v[6:7], -v[6:7], v[14:15], v[10:11]
	v_mov_b32_e32 v10, 0x54ca8b19
	s_nop 0
	v_div_fmas_f64 v[6:7], v[6:7], v[8:9], v[14:15]
	v_div_fixup_f64 v[6:7], v[6:7], v[2:3], s[16:17]
	s_mov_b32 s16, 0x54ca8b19
	v_add_f64 v[6:7], v[6:7], -2.0
	v_mov_b32_e32 v8, 0x66119130
	v_mov_b32_e32 v9, 0xbc5646da
	s_mov_b32 s17, 0xbc60adb7
	v_fmac_f64_e32 v[8:9], s[16:17], v[6:7]
	v_mov_b32_e32 v11, 0x3c60adb7
	s_mov_b32 s16, 0x12d98421
	v_fmac_f64_e32 v[10:11], v[6:7], v[8:9]
	s_mov_b32 s17, 0x3c89be18
	v_add_f64 v[10:11], v[10:11], s[16:17]
	s_mov_b32 s16, 0x76041cd
	v_fma_f64 v[8:9], v[6:7], v[10:11], -v[8:9]
	s_mov_b32 s17, 0x3c83f3dd
	v_add_f64 v[8:9], v[8:9], s[16:17]
	s_mov_b32 s16, 0xabd21fe4
	v_fma_f64 v[10:11], v[6:7], v[8:9], -v[10:11]
	;; [unrolled: 4-line block ×22, first 2 shown]
	s_mov_b32 s17, 0x3fe9be62
	v_add_f64 v[8:9], v[6:7], s[16:17]
	s_mov_b32 s16, 0x652b82fe
	s_mov_b32 s17, 0x3ff71547
	v_mul_f64 v[6:7], v[2:3], s[16:17]
	s_mov_b32 s16, 0xfefa39ef
	v_rndne_f64_e32 v[6:7], v[6:7]
	s_mov_b32 s17, 0xbfe62e42
	v_fma_f64 v[14:15], s[16:17], v[6:7], v[2:3]
	s_mov_b32 s16, 0x3b39803f
	s_mov_b32 s17, 0xbc7abc9e
	v_fmac_f64_e32 v[14:15], s[16:17], v[6:7]
	s_mov_b32 s16, 0x6a5dcb37
	s_mov_b32 s17, 0x3e5ade15
	v_fmac_f64_e32 v[16:17], s[16:17], v[14:15]
	v_mov_b32_e32 v19, 0x3ec71dee
	v_fmac_f64_e32 v[18:19], v[14:15], v[16:17]
	v_mov_b32_e32 v16, 0x7c89e6b0
	v_mov_b32_e32 v17, 0x3efa0199
	v_fmac_f64_e32 v[16:17], v[14:15], v[18:19]
	v_mov_b32_e32 v18, 0x14761f6e
	v_mov_b32_e32 v19, 0x3f2a01a0
	v_fmac_f64_e32 v[18:19], v[14:15], v[16:17]
	v_mov_b32_e32 v16, 0x1852b7b0
	v_mov_b32_e32 v17, 0x3f56c16c
	v_fmac_f64_e32 v[16:17], v[14:15], v[18:19]
	v_mov_b32_e32 v18, 0x11122322
	v_mov_b32_e32 v19, 0x3f811111
	v_fmac_f64_e32 v[18:19], v[14:15], v[16:17]
	v_mov_b32_e32 v16, 0x555502a1
	v_mov_b32_e32 v17, 0x3fa55555
	v_fmac_f64_e32 v[16:17], v[14:15], v[18:19]
	v_mov_b32_e32 v18, 0x55555511
	v_mov_b32_e32 v19, 0x3fc55555
	v_fmac_f64_e32 v[18:19], v[14:15], v[16:17]
	v_mov_b32_e32 v16, 11
	v_mov_b32_e32 v17, 0x3fe00000
	v_fmac_f64_e32 v[16:17], v[14:15], v[18:19]
	s_mov_b32 s16, 0
	v_fma_f64 v[16:17], v[14:15], v[16:17], 1.0
	s_mov_b32 s17, 0x40900000
	v_fma_f64 v[14:15], v[14:15], v[16:17], 1.0
	v_cvt_i32_f64_e32 v1, v[6:7]
	v_cmp_nlt_f64_e32 vcc, s[16:17], v[2:3]
	s_mov_b32 s16, 0
	v_ldexp_f64 v[6:7], v[14:15], v1
	v_mov_b32_e32 v1, 0x7ff00000
	s_brev_b32 s17, 8
	v_cndmask_b32_e32 v7, v1, v7, vcc
	v_cndmask_b32_e32 v6, 0, v6, vcc
	v_cmp_gt_f64_e32 vcc, s[16:17], v[2:3]
	v_cndmask_b32_e64 v1, 0, 1, vcc
	v_lshlrev_b32_e32 v1, 8, v1
	v_ldexp_f64 v[14:15], v[2:3], v1
	v_rsq_f64_e32 v[16:17], v[14:15]
	v_add_f64 v[8:9], v[8:9], -v[10:11]
	v_mov_b32_e32 v1, 0xffffff80
	v_cndmask_b32_e32 v1, 0, v1, vcc
	v_mul_f64 v[10:11], v[14:15], v[16:17]
	v_mul_f64 v[16:17], v[16:17], 0.5
	v_fma_f64 v[18:19], -v[16:17], v[10:11], 0.5
	v_fmac_f64_e32 v[10:11], v[10:11], v[18:19]
	v_fma_f64 v[20:21], -v[10:11], v[10:11], v[14:15]
	v_fmac_f64_e32 v[16:17], v[16:17], v[18:19]
	v_fmac_f64_e32 v[10:11], v[20:21], v[16:17]
	v_fma_f64 v[18:19], -v[10:11], v[10:11], v[14:15]
	v_fmac_f64_e32 v[10:11], v[18:19], v[16:17]
	v_ldexp_f64 v[10:11], v[10:11], v1
	v_mov_b32_e32 v1, 0x260
	v_mul_f64 v[8:9], v[8:9], 0.5
	v_cmp_class_f64_e32 vcc, v[14:15], v1
	v_mul_f64 v[8:9], v[6:7], v[8:9]
	v_cndmask_b32_e32 v11, v11, v15, vcc
	v_cndmask_b32_e32 v10, v10, v14, vcc
	v_div_scale_f64 v[14:15], s[16:17], v[10:11], v[10:11], v[8:9]
	v_rcp_f64_e32 v[16:17], v[14:15]
	v_fma_f64 v[18:19], -v[14:15], v[16:17], 1.0
	v_fmac_f64_e32 v[16:17], v[16:17], v[18:19]
	v_fma_f64 v[18:19], -v[14:15], v[16:17], 1.0
	v_fmac_f64_e32 v[16:17], v[16:17], v[18:19]
	v_div_scale_f64 v[18:19], vcc, v[8:9], v[10:11], v[8:9]
	v_mul_f64 v[20:21], v[18:19], v[16:17]
	v_fma_f64 v[14:15], -v[14:15], v[20:21], v[18:19]
	s_nop 1
	v_div_fmas_f64 v[14:15], v[14:15], v[16:17], v[20:21]
	v_div_fixup_f64 v[8:9], v[14:15], v[10:11], v[8:9]
.LBB7_167:
	s_or_b64 exec, exec, s[14:15]
	s_mov_b32 s14, 0xe6a7fd77
	v_fma_f64 v[2:3], v[2:3], v[2:3], -2.0
	v_mov_b32_e32 v10, 0xc384c2aa
	v_mov_b32_e32 v11, 0x3d27fb0a
	s_mov_b32 s15, 0x3ca3cee1
	v_fmac_f64_e32 v[10:11], s[14:15], v[2:3]
	v_mov_b32_e32 v14, 0xe6a7fd77
	v_mov_b32_e32 v15, 0xbca3cee1
	s_mov_b32 s14, 0x47512144
	v_fmac_f64_e32 v[14:15], v[2:3], v[10:11]
	s_mov_b32 s15, 0x3da6c25c
	v_add_f64 v[14:15], v[14:15], s[14:15]
	s_mov_b32 s14, 0x67e58a13
	v_fma_f64 v[10:11], v[2:3], v[14:15], -v[10:11]
	s_mov_b32 s15, 0x3e205c13
	v_add_f64 v[10:11], v[10:11], s[14:15]
	s_mov_b32 s14, 0xe7f95efc
	v_fma_f64 v[14:15], v[2:3], v[10:11], -v[14:15]
	;; [unrolled: 4-line block ×7, first 2 shown]
	s_mov_b32 s15, 0xbfe12166
	v_add_f64 v[2:3], v[2:3], s[14:15]
	s_mov_b32 s14, 0x55555555
	v_add_f64 v[2:3], v[2:3], -v[10:11]
	v_frexp_mant_f64_e32 v[10:11], v[4:5]
	s_mov_b32 s15, 0x3fe55555
	v_mov_b32_e32 v13, 0x3ff00000
	v_cmp_gt_f64_e32 vcc, s[14:15], v[10:11]
	v_cndmask_b32_e64 v15, v13, 2.0, vcc
	v_mov_b32_e32 v14, 0
	v_mul_f64 v[10:11], v[10:11], v[14:15]
	v_add_f64 v[14:15], v[10:11], 1.0
	v_rcp_f64_e32 v[16:17], v[14:15]
	v_add_f64 v[20:21], v[14:15], -1.0
	v_add_f64 v[18:19], v[10:11], -1.0
	v_add_f64 v[10:11], v[10:11], -v[20:21]
	v_fma_f64 v[20:21], -v[14:15], v[16:17], 1.0
	v_fmac_f64_e32 v[16:17], v[20:21], v[16:17]
	v_fma_f64 v[20:21], -v[14:15], v[16:17], 1.0
	v_fmac_f64_e32 v[16:17], v[20:21], v[16:17]
	v_mul_f64 v[20:21], v[18:19], v[16:17]
	v_mul_f64 v[22:23], v[14:15], v[20:21]
	v_fma_f64 v[14:15], v[20:21], v[14:15], -v[22:23]
	v_fmac_f64_e32 v[14:15], v[20:21], v[10:11]
	v_add_f64 v[10:11], v[22:23], v[14:15]
	v_add_f64 v[24:25], v[18:19], -v[10:11]
	v_add_f64 v[22:23], v[10:11], -v[22:23]
	;; [unrolled: 1-line block ×5, first 2 shown]
	v_add_f64 v[10:11], v[14:15], v[10:11]
	v_add_f64 v[10:11], v[24:25], v[10:11]
	v_mul_f64 v[10:11], v[16:17], v[10:11]
	v_add_f64 v[14:15], v[20:21], v[10:11]
	v_add_f64 v[16:17], v[14:15], -v[20:21]
	s_mov_b32 s14, 0xbf559e2b
	v_add_f64 v[10:11], v[10:11], -v[16:17]
	v_mul_f64 v[16:17], v[14:15], v[14:15]
	v_mov_b32_e32 v18, 0x6b47b09a
	v_mov_b32_e32 v19, 0x3fc38538
	s_mov_b32 s15, 0x3fc3ab76
	v_fmac_f64_e32 v[18:19], s[14:15], v[16:17]
	v_mov_b32_e32 v20, 0xd7f4df2e
	v_mov_b32_e32 v21, 0x3fc7474d
	v_fmac_f64_e32 v[20:21], v[16:17], v[18:19]
	v_mov_b32_e32 v18, 0x16291751
	v_mov_b32_e32 v19, 0x3fcc71c0
	;; [unrolled: 3-line block ×5, first 2 shown]
	v_fmac_f64_e32 v[20:21], v[16:17], v[18:19]
	v_ldexp_f64 v[18:19], v[14:15], 1
	v_mul_f64 v[14:15], v[14:15], v[16:17]
	v_mul_f64 v[14:15], v[14:15], v[20:21]
	v_add_f64 v[16:17], v[18:19], v[14:15]
	v_add_f64 v[18:19], v[16:17], -v[18:19]
	v_ldexp_f64 v[10:11], v[10:11], 1
	v_add_f64 v[14:15], v[14:15], -v[18:19]
	v_add_f64 v[10:11], v[10:11], v[14:15]
	v_frexp_exp_i32_f64_e32 v1, v[4:5]
	v_add_f64 v[14:15], v[16:17], v[10:11]
	v_subbrev_co_u32_e32 v1, vcc, 0, v1, vcc
	v_add_f64 v[16:17], v[14:15], -v[16:17]
	s_mov_b32 s14, 0xfefa39ef
	v_add_f64 v[10:11], v[10:11], -v[16:17]
	v_cvt_f64_i32_e32 v[16:17], v1
	s_mov_b32 s15, 0x3fe62e42
	v_mul_f64 v[18:19], v[16:17], s[14:15]
	v_fma_f64 v[20:21], v[16:17], s[14:15], -v[18:19]
	s_mov_b32 s14, 0x3b39803f
	s_mov_b32 s15, 0x3c7abc9e
	v_fmac_f64_e32 v[20:21], s[14:15], v[16:17]
	v_add_f64 v[16:17], v[18:19], v[20:21]
	v_add_f64 v[18:19], v[16:17], -v[18:19]
	v_add_f64 v[18:19], v[20:21], -v[18:19]
	v_add_f64 v[20:21], v[16:17], v[14:15]
	v_add_f64 v[22:23], v[20:21], -v[16:17]
	v_add_f64 v[24:25], v[20:21], -v[22:23]
	;; [unrolled: 1-line block ×4, first 2 shown]
	v_add_f64 v[14:15], v[14:15], v[16:17]
	v_add_f64 v[16:17], v[18:19], v[10:11]
	v_add_f64 v[22:23], v[16:17], -v[18:19]
	v_add_f64 v[24:25], v[16:17], -v[22:23]
	v_add_f64 v[14:15], v[16:17], v[14:15]
	v_add_f64 v[18:19], v[18:19], -v[24:25]
	v_add_f64 v[10:11], v[10:11], -v[22:23]
	v_add_f64 v[16:17], v[20:21], v[14:15]
	v_add_f64 v[10:11], v[10:11], v[18:19]
	v_add_f64 v[18:19], v[16:17], -v[20:21]
	v_add_f64 v[14:15], v[14:15], -v[18:19]
	s_mov_b32 s14, 0
	v_add_f64 v[10:11], v[10:11], v[14:15]
	s_mov_b32 s15, 0x7ff00000
	v_add_f64 v[10:11], v[16:17], v[10:11]
	v_cmp_eq_f64_e32 vcc, s[14:15], v[4:5]
	v_cndmask_b32_e32 v1, v10, v4, vcc
	v_cndmask_b32_e32 v10, v11, v5, vcc
	v_mov_b32_e32 v11, 0xfff00000
	v_cmp_neq_f64_e32 vcc, 0, v[4:5]
	v_cndmask_b32_e32 v5, v11, v10, vcc
	v_cndmask_b32_e32 v4, 0, v1, vcc
	v_mul_f64 v[4:5], v[4:5], v[8:9]
	v_fma_f64 v[2:3], v[2:3], 0.5, -v[4:5]
	v_mul_f64 v[4:5], v[6:7], v[2:3]
                                        ; implicit-def: $vgpr2_vgpr3
.LBB7_168:
	s_andn2_saveexec_b64 s[12:13], s[12:13]
	s_cbranch_execz .LBB7_170
; %bb.169:
	s_mov_b32 s14, 0
	s_mov_b32 s15, 0x40200000
	v_div_scale_f64 v[4:5], s[16:17], v[2:3], v[2:3], s[14:15]
	v_rcp_f64_e32 v[6:7], v[4:5]
	s_mov_b32 s16, 0
	s_brev_b32 s17, 8
	v_fma_f64 v[8:9], -v[4:5], v[6:7], 1.0
	v_fmac_f64_e32 v[6:7], v[6:7], v[8:9]
	v_fma_f64 v[8:9], -v[4:5], v[6:7], 1.0
	v_fmac_f64_e32 v[6:7], v[6:7], v[8:9]
	v_div_scale_f64 v[8:9], vcc, s[14:15], v[2:3], s[14:15]
	v_mul_f64 v[10:11], v[8:9], v[6:7]
	v_fma_f64 v[4:5], -v[4:5], v[10:11], v[8:9]
	v_mov_b32_e32 v8, 0xcf8c9ee1
	s_nop 0
	v_div_fmas_f64 v[4:5], v[4:5], v[6:7], v[10:11]
	v_div_fixup_f64 v[4:5], v[4:5], v[2:3], s[14:15]
	s_mov_b32 s14, 0xcf8c9ee1
	v_add_f64 v[4:5], v[4:5], -2.0
	v_mov_b32_e32 v6, 0x93812603
	v_mov_b32_e32 v7, 0xbc72fecc
	s_mov_b32 s15, 0x3c5871a5
	v_fmac_f64_e32 v[6:7], s[14:15], v[4:5]
	v_mov_b32_e32 v9, 0xbc5871a5
	s_mov_b32 s14, 0x41a8cdf4
	v_fmac_f64_e32 v[8:9], v[4:5], v[6:7]
	s_mov_b32 s15, 0x3c8e092e
	v_add_f64 v[8:9], v[8:9], s[14:15]
	s_mov_b32 s14, 0x74d77641
	v_fma_f64 v[6:7], v[4:5], v[8:9], -v[6:7]
	s_mov_b32 s15, 0xbca82f94
	v_add_f64 v[6:7], v[6:7], s[14:15]
	s_mov_b32 s14, 0x6b94785b
	v_fma_f64 v[8:9], v[4:5], v[6:7], -v[8:9]
	;; [unrolled: 4-line block ×20, first 2 shown]
	s_mov_b32 s15, 0x3f59b891
	v_cmp_gt_f64_e32 vcc, s[16:17], v[2:3]
	v_add_f64 v[8:9], v[8:9], s[14:15]
	s_mov_b32 s14, 0x2d4ff71e
	v_cndmask_b32_e64 v1, 0, 1, vcc
	v_fma_f64 v[6:7], v[4:5], v[8:9], -v[6:7]
	s_mov_b32 s15, 0xbfa019f7
	v_lshlrev_b32_e32 v1, 8, v1
	v_add_f64 v[6:7], v[6:7], s[14:15]
	v_ldexp_f64 v[2:3], v[2:3], v1
	v_fma_f64 v[4:5], v[4:5], v[6:7], -v[8:9]
	v_rsq_f64_e32 v[6:7], v[2:3]
	s_mov_b32 s14, 0x9f4e6907
	s_mov_b32 s15, 0x400385bd
	v_add_f64 v[4:5], v[4:5], s[14:15]
	v_add_f64 v[4:5], v[4:5], -v[8:9]
	v_mul_f64 v[8:9], v[2:3], v[6:7]
	v_mul_f64 v[6:7], v[6:7], 0.5
	v_fma_f64 v[10:11], -v[6:7], v[8:9], 0.5
	v_fmac_f64_e32 v[8:9], v[8:9], v[10:11]
	v_fma_f64 v[14:15], -v[8:9], v[8:9], v[2:3]
	v_fmac_f64_e32 v[6:7], v[6:7], v[10:11]
	v_fmac_f64_e32 v[8:9], v[14:15], v[6:7]
	v_fma_f64 v[10:11], -v[8:9], v[8:9], v[2:3]
	v_mov_b32_e32 v1, 0xffffff80
	v_fmac_f64_e32 v[8:9], v[10:11], v[6:7]
	v_cndmask_b32_e32 v1, 0, v1, vcc
	v_ldexp_f64 v[6:7], v[8:9], v1
	v_mov_b32_e32 v1, 0x260
	v_cmp_class_f64_e32 vcc, v[2:3], v1
	v_mul_f64 v[4:5], v[4:5], 0.5
	v_cndmask_b32_e32 v3, v7, v3, vcc
	v_cndmask_b32_e32 v2, v6, v2, vcc
	v_div_scale_f64 v[6:7], s[14:15], v[2:3], v[2:3], v[4:5]
	v_rcp_f64_e32 v[8:9], v[6:7]
	v_fma_f64 v[10:11], -v[6:7], v[8:9], 1.0
	v_fmac_f64_e32 v[8:9], v[8:9], v[10:11]
	v_fma_f64 v[10:11], -v[6:7], v[8:9], 1.0
	v_fmac_f64_e32 v[8:9], v[8:9], v[10:11]
	v_div_scale_f64 v[10:11], vcc, v[4:5], v[2:3], v[4:5]
	v_mul_f64 v[14:15], v[10:11], v[8:9]
	v_fma_f64 v[6:7], -v[6:7], v[14:15], v[10:11]
	s_nop 1
	v_div_fmas_f64 v[6:7], v[6:7], v[8:9], v[14:15]
	v_div_fixup_f64 v[4:5], v[6:7], v[2:3], v[4:5]
.LBB7_170:
	s_or_b64 exec, exec, s[12:13]
.LBB7_171:
	s_or_b64 exec, exec, s[10:11]
.LBB7_172:
	s_or_b64 exec, exec, s[8:9]
	v_add_u32_e32 v12, 0x80, v12
	global_store_dwordx2 v0, v[4:5], s[0:1]
	s_or_b64 exec, exec, s[48:49]
	v_cmp_gt_i32_e32 vcc, s57, v12
	s_and_saveexec_b64 s[48:49], vcc
	s_cbranch_execnz .LBB7_145
.LBB7_173:
	s_or_b64 exec, exec, s[48:49]
	v_cmp_gt_i32_e32 vcc, s57, v12
	s_and_saveexec_b64 s[48:49], vcc
	s_cbranch_execnz .LBB7_197
.LBB7_174:
	s_or_b64 exec, exec, s[48:49]
                                        ; implicit-def: $vgpr9
                                        ; implicit-def: $vgpr12
	s_waitcnt lgkmcnt(0)
	s_andn2_saveexec_b64 s[0:1], s[34:35]
	s_cbranch_execnz .LBB7_9
.LBB7_175:
	s_endpgm
.LBB7_176:
	s_mov_b32 s51, s50
	v_pk_mov_b32 v[0:1], s[50:51], s[50:51] op_sel:[0,1]
                                        ; implicit-def: $vgpr2
	v_mov_b32_e32 v3, v12
.LBB7_177:
	s_and_b32 s12, s59, 3
	s_cmp_eq_u32 s12, 0
	s_cbranch_scc1 .LBB7_181
; %bb.178:
	s_lshl_b32 s8, s50, 3
	s_add_u32 s8, s8, s4
	s_addc_u32 s9, s5, 0
	s_add_u32 s8, s8, 0xc4
	s_addc_u32 s9, s9, 0
	s_mul_i32 s10, s50, 12
	s_add_u32 s10, s4, s10
	s_addc_u32 s11, s5, 0
.LBB7_179:                              ; =>This Inner Loop Header: Depth=1
	s_load_dwordx2 s[14:15], s[10:11], 0x4
	s_load_dword s13, s[10:11], 0xc
	s_load_dwordx2 s[16:17], s[8:9], 0x0
	v_mov_b32_e32 v2, v1
	s_add_u32 s10, s10, 12
	s_waitcnt lgkmcnt(0)
	v_mul_hi_u32 v1, s15, v3
	v_add_u32_e32 v1, v3, v1
	v_lshrrev_b32_e32 v1, s13, v1
	s_addc_u32 s11, s11, 0
	v_mul_lo_u32 v4, v1, s14
	s_add_u32 s8, s8, 8
	v_sub_u32_e32 v6, v3, v4
	v_mov_b32_e32 v3, v1
	s_addc_u32 s9, s9, 0
	s_add_i32 s12, s12, -1
	v_mad_u64_u32 v[4:5], s[14:15], v6, s17, v[2:3]
	v_mad_u64_u32 v[0:1], s[14:15], v6, s16, v[0:1]
	s_cmp_lg_u32 s12, 0
	v_mov_b32_e32 v1, v4
	s_cbranch_scc1 .LBB7_179
; %bb.180:
	v_mov_b32_e32 v2, v1
.LBB7_181:
	s_cbranch_execnz .LBB7_184
.LBB7_182:
	s_waitcnt lgkmcnt(0)
	v_mul_hi_u32 v0, s29, v12
	v_add_u32_e32 v0, v12, v0
	v_lshrrev_b32_e32 v1, s30, v0
	v_mul_lo_u32 v0, v1, s28
	v_sub_u32_e32 v0, v12, v0
	v_mul_lo_u32 v2, v0, s25
	s_andn2_b64 vcc, exec, s[42:43]
	v_mul_lo_u32 v0, v0, s24
	s_cbranch_vccnz .LBB7_184
; %bb.183:
	v_mul_hi_u32 v3, s40, v1
	v_add_u32_e32 v3, v1, v3
	v_lshrrev_b32_e32 v3, s41, v3
	v_mul_lo_u32 v3, v3, s31
	v_sub_u32_e32 v3, v1, v3
	v_mad_u64_u32 v[0:1], s[8:9], v3, s26, v[0:1]
	v_mad_u64_u32 v[2:3], s[8:9], v3, s27, v[2:3]
.LBB7_184:
	s_waitcnt lgkmcnt(0)
	global_load_dwordx2 v[2:3], v2, s[2:3]
	v_mov_b32_e32 v4, 0
	v_mov_b32_e32 v5, 0x7ff00000
	s_waitcnt vmcnt(0)
	v_cmp_neq_f64_e32 vcc, 0, v[2:3]
	s_and_saveexec_b64 s[8:9], vcc
	s_cbranch_execz .LBB7_196
; %bb.185:
	v_mov_b32_e32 v4, 0
	v_cmp_ngt_f64_e32 vcc, 0, v[2:3]
	v_mov_b32_e32 v5, 0x7ff80000
	s_and_saveexec_b64 s[10:11], vcc
	s_cbranch_execz .LBB7_195
; %bb.186:
	v_cmp_ge_f64_e32 vcc, 2.0, v[2:3]
                                        ; implicit-def: $vgpr4_vgpr5
	s_and_saveexec_b64 s[12:13], vcc
	s_xor_b64 s[12:13], exec, s[12:13]
	s_cbranch_execz .LBB7_192
; %bb.187:
	s_mov_b32 s14, 0
	s_mov_b32 s15, 0x40200000
	v_mul_f64 v[4:5], v[2:3], 0.5
	v_cmp_ge_f64_e32 vcc, s[14:15], v[2:3]
                                        ; implicit-def: $vgpr8_vgpr9
                                        ; implicit-def: $vgpr6_vgpr7
	s_and_saveexec_b64 s[14:15], vcc
	s_xor_b64 s[14:15], exec, s[14:15]
	s_cbranch_execz .LBB7_189
; %bb.188:
	s_mov_b32 s16, 0x2134d0ef
	v_add_f64 v[6:7], v[4:5], -2.0
	v_mov_b32_e32 v8, 0x977da589
	v_mov_b32_e32 v9, 0x3c833362
	s_mov_b32 s17, 0xbc545cb7
	v_fmac_f64_e32 v[8:9], s[16:17], v[6:7]
	v_mov_b32_e32 v10, 0x2134d0ef
	v_mov_b32_e32 v11, 0x3c545cb7
	s_mov_b32 s16, 0x721ebbb4
	v_fmac_f64_e32 v[10:11], v[6:7], v[8:9]
	s_mov_b32 s17, 0xbcb184eb
	v_add_f64 v[10:11], v[10:11], s[16:17]
	s_mov_b32 s16, 0x93f65eba
	v_fma_f64 v[8:9], v[6:7], v[10:11], -v[8:9]
	s_mov_b32 s17, 0x3cdee6d8
	v_add_f64 v[8:9], v[8:9], s[16:17]
	s_mov_b32 s16, 0xc297fbeb
	v_fma_f64 v[10:11], v[6:7], v[8:9], -v[10:11]
	;; [unrolled: 4-line block ×27, first 2 shown]
	s_mov_b32 s17, 0x3fe5a84e
	v_add_f64 v[10:11], v[6:7], s[16:17]
	s_mov_b32 s16, 0x652b82fe
	s_mov_b32 s17, 0x3ff71547
	v_mul_f64 v[6:7], v[2:3], s[16:17]
	s_mov_b32 s16, 0xfefa39ef
	v_rndne_f64_e32 v[6:7], v[6:7]
	s_mov_b32 s17, 0xbfe62e42
	v_fma_f64 v[14:15], s[16:17], v[6:7], v[2:3]
	s_mov_b32 s16, 0x3b39803f
	s_mov_b32 s17, 0xbc7abc9e
	v_fmac_f64_e32 v[14:15], s[16:17], v[6:7]
	s_mov_b32 s16, 0x6a5dcb37
	v_mov_b32_e32 v16, 0xfca7ab0c
	v_mov_b32_e32 v17, 0x3e928af3
	s_mov_b32 s17, 0x3e5ade15
	v_fmac_f64_e32 v[16:17], s[16:17], v[14:15]
	v_mov_b32_e32 v18, 0x623fde64
	v_mov_b32_e32 v19, 0x3ec71dee
	v_fmac_f64_e32 v[18:19], v[14:15], v[16:17]
	v_mov_b32_e32 v16, 0x7c89e6b0
	v_mov_b32_e32 v17, 0x3efa0199
	;; [unrolled: 3-line block ×8, first 2 shown]
	v_fmac_f64_e32 v[16:17], v[14:15], v[18:19]
	v_fma_f64 v[16:17], v[14:15], v[16:17], 1.0
	s_mov_b32 s16, 0
	v_fma_f64 v[14:15], v[14:15], v[16:17], 1.0
	v_cvt_i32_f64_e32 v1, v[6:7]
	s_mov_b32 s17, 0x40900000
	v_ldexp_f64 v[6:7], v[14:15], v1
	v_mov_b32_e32 v1, 0x7ff00000
	v_cmp_nlt_f64_e32 vcc, s[16:17], v[2:3]
	v_add_f64 v[8:9], v[10:11], -v[8:9]
	v_cndmask_b32_e32 v7, v1, v7, vcc
	v_cndmask_b32_e32 v6, 0, v6, vcc
	v_mul_f64 v[8:9], v[8:9], 0.5
	v_mul_f64 v[8:9], v[6:7], v[8:9]
.LBB7_189:
	s_andn2_saveexec_b64 s[14:15], s[14:15]
	s_cbranch_execz .LBB7_191
; %bb.190:
	s_mov_b32 s16, 0
	s_mov_b32 s17, 0x40400000
	v_div_scale_f64 v[6:7], s[18:19], v[2:3], v[2:3], s[16:17]
	v_rcp_f64_e32 v[8:9], v[6:7]
	v_mov_b32_e32 v16, 0xfca7ab0c
	v_mov_b32_e32 v17, 0x3e928af3
	;; [unrolled: 1-line block ×3, first 2 shown]
	v_fma_f64 v[10:11], -v[6:7], v[8:9], 1.0
	v_fmac_f64_e32 v[8:9], v[8:9], v[10:11]
	v_fma_f64 v[10:11], -v[6:7], v[8:9], 1.0
	v_fmac_f64_e32 v[8:9], v[8:9], v[10:11]
	v_div_scale_f64 v[10:11], vcc, s[16:17], v[2:3], s[16:17]
	v_mul_f64 v[14:15], v[10:11], v[8:9]
	v_fma_f64 v[6:7], -v[6:7], v[14:15], v[10:11]
	v_mov_b32_e32 v10, 0x54ca8b19
	s_nop 0
	v_div_fmas_f64 v[6:7], v[6:7], v[8:9], v[14:15]
	v_div_fixup_f64 v[6:7], v[6:7], v[2:3], s[16:17]
	s_mov_b32 s16, 0x54ca8b19
	v_add_f64 v[6:7], v[6:7], -2.0
	v_mov_b32_e32 v8, 0x66119130
	v_mov_b32_e32 v9, 0xbc5646da
	s_mov_b32 s17, 0xbc60adb7
	v_fmac_f64_e32 v[8:9], s[16:17], v[6:7]
	v_mov_b32_e32 v11, 0x3c60adb7
	s_mov_b32 s16, 0x12d98421
	v_fmac_f64_e32 v[10:11], v[6:7], v[8:9]
	s_mov_b32 s17, 0x3c89be18
	v_add_f64 v[10:11], v[10:11], s[16:17]
	s_mov_b32 s16, 0x76041cd
	v_fma_f64 v[8:9], v[6:7], v[10:11], -v[8:9]
	s_mov_b32 s17, 0x3c83f3dd
	v_add_f64 v[8:9], v[8:9], s[16:17]
	s_mov_b32 s16, 0xabd21fe4
	v_fma_f64 v[10:11], v[6:7], v[8:9], -v[10:11]
	s_mov_b32 s17, 0xbcb4600b
	v_add_f64 v[10:11], v[10:11], s[16:17]
	s_mov_b32 s16, 0xd908de38
	v_fma_f64 v[8:9], v[6:7], v[10:11], -v[8:9]
	s_mov_b32 s17, 0xbcb8aee7
	v_add_f64 v[8:9], v[8:9], s[16:17]
	s_mov_b32 s16, 0xa3eafb1f
	v_fma_f64 v[10:11], v[6:7], v[8:9], -v[10:11]
	s_mov_b32 s17, 0x3cdfee7d
	v_add_f64 v[10:11], v[10:11], s[16:17]
	s_mov_b32 s16, 0x9094e6d7
	v_fma_f64 v[8:9], v[6:7], v[10:11], -v[8:9]
	s_mov_b32 s17, 0x3cf12a91
	v_add_f64 v[8:9], v[8:9], s[16:17]
	s_mov_b32 s16, 0x7e65629a
	v_fma_f64 v[10:11], v[6:7], v[8:9], -v[10:11]
	s_mov_b32 s17, 0xbd0583fe
	v_add_f64 v[10:11], v[10:11], s[16:17]
	s_mov_b32 s16, 0xcf68bb32
	v_fma_f64 v[8:9], v[6:7], v[10:11], -v[8:9]
	s_mov_b32 s17, 0xbd275d99
	v_add_f64 v[8:9], v[8:9], s[16:17]
	s_mov_b32 s16, 0xd5fc545
	v_fma_f64 v[10:11], v[6:7], v[8:9], -v[10:11]
	s_mov_b32 s17, 0x3d1156ff
	v_add_f64 v[10:11], v[10:11], s[16:17]
	s_mov_b32 s16, 0x6b83c073
	v_fma_f64 v[8:9], v[6:7], v[10:11], -v[8:9]
	s_mov_b32 s17, 0x3d5b1c8c
	v_add_f64 v[8:9], v[8:9], s[16:17]
	s_mov_b32 s16, 0xfa268cec
	v_fma_f64 v[10:11], v[6:7], v[8:9], -v[10:11]
	s_mov_b32 s17, 0x3d694347
	v_add_f64 v[10:11], v[10:11], s[16:17]
	s_mov_b32 s16, 0x3178d66
	v_fma_f64 v[8:9], v[6:7], v[10:11], -v[8:9]
	s_mov_b32 s17, 0xbd7f9043
	v_add_f64 v[8:9], v[8:9], s[16:17]
	s_mov_b32 s16, 0x357e7bf2
	v_fma_f64 v[10:11], v[6:7], v[8:9], -v[10:11]
	s_mov_b32 s17, 0xbdad0fd7
	v_add_f64 v[10:11], v[10:11], s[16:17]
	s_mov_b32 s16, 0x8397425
	v_fma_f64 v[8:9], v[6:7], v[10:11], -v[8:9]
	s_mov_b32 s17, 0xbdc1511d
	v_add_f64 v[8:9], v[8:9], s[16:17]
	s_mov_b32 s16, 0xabe8004f
	v_fma_f64 v[10:11], v[6:7], v[8:9], -v[10:11]
	s_mov_b32 s17, 0x3daa24fe
	v_add_f64 v[10:11], v[10:11], s[16:17]
	s_mov_b32 s16, 0xc0f46f75
	v_fma_f64 v[8:9], v[6:7], v[10:11], -v[8:9]
	s_mov_b32 s17, 0x3e00f9cc
	v_add_f64 v[8:9], v[8:9], s[16:17]
	s_mov_b32 s16, 0xa9225b87
	v_fma_f64 v[10:11], v[6:7], v[8:9], -v[10:11]
	s_mov_b32 s17, 0x3e2d2c64
	v_add_f64 v[10:11], v[10:11], s[16:17]
	s_mov_b32 s16, 0x80d6d56d
	v_fma_f64 v[8:9], v[6:7], v[10:11], -v[8:9]
	s_mov_b32 s17, 0x3e585692
	v_add_f64 v[8:9], v[8:9], s[16:17]
	s_mov_b32 s16, 0xd9cd616e
	v_fma_f64 v[10:11], v[6:7], v[8:9], -v[10:11]
	s_mov_b32 s17, 0x3e8b8007
	v_add_f64 v[10:11], v[10:11], s[16:17]
	s_mov_b32 s16, 0xc101c586
	v_fma_f64 v[8:9], v[6:7], v[10:11], -v[8:9]
	s_mov_b32 s17, 0x3ec8412b
	v_add_f64 v[8:9], v[8:9], s[16:17]
	s_mov_b32 s16, 0x78999e52
	v_fma_f64 v[10:11], v[6:7], v[8:9], -v[10:11]
	s_mov_b32 s17, 0x3f120fa3
	v_add_f64 v[10:11], v[10:11], s[16:17]
	s_mov_b32 s16, 0xa2e59049
	v_fma_f64 v[8:9], v[6:7], v[10:11], -v[8:9]
	s_mov_b32 s17, 0x3f6b998c
	v_add_f64 v[8:9], v[8:9], s[16:17]
	s_mov_b32 s16, 0xaca809cb
	v_fma_f64 v[6:7], v[6:7], v[8:9], -v[10:11]
	s_mov_b32 s17, 0x3fe9be62
	v_add_f64 v[8:9], v[6:7], s[16:17]
	s_mov_b32 s16, 0x652b82fe
	s_mov_b32 s17, 0x3ff71547
	v_mul_f64 v[6:7], v[2:3], s[16:17]
	s_mov_b32 s16, 0xfefa39ef
	v_rndne_f64_e32 v[6:7], v[6:7]
	s_mov_b32 s17, 0xbfe62e42
	v_fma_f64 v[14:15], s[16:17], v[6:7], v[2:3]
	s_mov_b32 s16, 0x3b39803f
	s_mov_b32 s17, 0xbc7abc9e
	v_fmac_f64_e32 v[14:15], s[16:17], v[6:7]
	s_mov_b32 s16, 0x6a5dcb37
	s_mov_b32 s17, 0x3e5ade15
	v_fmac_f64_e32 v[16:17], s[16:17], v[14:15]
	v_mov_b32_e32 v19, 0x3ec71dee
	v_fmac_f64_e32 v[18:19], v[14:15], v[16:17]
	v_mov_b32_e32 v16, 0x7c89e6b0
	v_mov_b32_e32 v17, 0x3efa0199
	v_fmac_f64_e32 v[16:17], v[14:15], v[18:19]
	v_mov_b32_e32 v18, 0x14761f6e
	;; [unrolled: 3-line block ×7, first 2 shown]
	v_mov_b32_e32 v17, 0x3fe00000
	v_fmac_f64_e32 v[16:17], v[14:15], v[18:19]
	s_mov_b32 s16, 0
	v_fma_f64 v[16:17], v[14:15], v[16:17], 1.0
	s_mov_b32 s17, 0x40900000
	v_fma_f64 v[14:15], v[14:15], v[16:17], 1.0
	v_cvt_i32_f64_e32 v1, v[6:7]
	v_cmp_nlt_f64_e32 vcc, s[16:17], v[2:3]
	s_mov_b32 s16, 0
	v_ldexp_f64 v[6:7], v[14:15], v1
	v_mov_b32_e32 v1, 0x7ff00000
	s_brev_b32 s17, 8
	v_cndmask_b32_e32 v7, v1, v7, vcc
	v_cndmask_b32_e32 v6, 0, v6, vcc
	v_cmp_gt_f64_e32 vcc, s[16:17], v[2:3]
	v_cndmask_b32_e64 v1, 0, 1, vcc
	v_lshlrev_b32_e32 v1, 8, v1
	v_ldexp_f64 v[14:15], v[2:3], v1
	v_rsq_f64_e32 v[16:17], v[14:15]
	v_add_f64 v[8:9], v[8:9], -v[10:11]
	v_mov_b32_e32 v1, 0xffffff80
	v_cndmask_b32_e32 v1, 0, v1, vcc
	v_mul_f64 v[10:11], v[14:15], v[16:17]
	v_mul_f64 v[16:17], v[16:17], 0.5
	v_fma_f64 v[18:19], -v[16:17], v[10:11], 0.5
	v_fmac_f64_e32 v[10:11], v[10:11], v[18:19]
	v_fma_f64 v[20:21], -v[10:11], v[10:11], v[14:15]
	v_fmac_f64_e32 v[16:17], v[16:17], v[18:19]
	v_fmac_f64_e32 v[10:11], v[20:21], v[16:17]
	v_fma_f64 v[18:19], -v[10:11], v[10:11], v[14:15]
	v_fmac_f64_e32 v[10:11], v[18:19], v[16:17]
	v_ldexp_f64 v[10:11], v[10:11], v1
	v_mov_b32_e32 v1, 0x260
	v_mul_f64 v[8:9], v[8:9], 0.5
	v_cmp_class_f64_e32 vcc, v[14:15], v1
	v_mul_f64 v[8:9], v[6:7], v[8:9]
	v_cndmask_b32_e32 v11, v11, v15, vcc
	v_cndmask_b32_e32 v10, v10, v14, vcc
	v_div_scale_f64 v[14:15], s[16:17], v[10:11], v[10:11], v[8:9]
	v_rcp_f64_e32 v[16:17], v[14:15]
	v_fma_f64 v[18:19], -v[14:15], v[16:17], 1.0
	v_fmac_f64_e32 v[16:17], v[16:17], v[18:19]
	v_fma_f64 v[18:19], -v[14:15], v[16:17], 1.0
	v_fmac_f64_e32 v[16:17], v[16:17], v[18:19]
	v_div_scale_f64 v[18:19], vcc, v[8:9], v[10:11], v[8:9]
	v_mul_f64 v[20:21], v[18:19], v[16:17]
	v_fma_f64 v[14:15], -v[14:15], v[20:21], v[18:19]
	s_nop 1
	v_div_fmas_f64 v[14:15], v[14:15], v[16:17], v[20:21]
	v_div_fixup_f64 v[8:9], v[14:15], v[10:11], v[8:9]
.LBB7_191:
	s_or_b64 exec, exec, s[14:15]
	s_mov_b32 s14, 0xe6a7fd77
	v_fma_f64 v[2:3], v[2:3], v[2:3], -2.0
	v_mov_b32_e32 v10, 0xc384c2aa
	v_mov_b32_e32 v11, 0x3d27fb0a
	s_mov_b32 s15, 0x3ca3cee1
	v_fmac_f64_e32 v[10:11], s[14:15], v[2:3]
	v_mov_b32_e32 v14, 0xe6a7fd77
	v_mov_b32_e32 v15, 0xbca3cee1
	s_mov_b32 s14, 0x47512144
	v_fmac_f64_e32 v[14:15], v[2:3], v[10:11]
	s_mov_b32 s15, 0x3da6c25c
	v_add_f64 v[14:15], v[14:15], s[14:15]
	s_mov_b32 s14, 0x67e58a13
	v_fma_f64 v[10:11], v[2:3], v[14:15], -v[10:11]
	s_mov_b32 s15, 0x3e205c13
	v_add_f64 v[10:11], v[10:11], s[14:15]
	s_mov_b32 s14, 0xe7f95efc
	v_fma_f64 v[14:15], v[2:3], v[10:11], -v[14:15]
	;; [unrolled: 4-line block ×7, first 2 shown]
	s_mov_b32 s15, 0xbfe12166
	v_add_f64 v[2:3], v[2:3], s[14:15]
	s_mov_b32 s14, 0x55555555
	v_add_f64 v[2:3], v[2:3], -v[10:11]
	v_frexp_mant_f64_e32 v[10:11], v[4:5]
	s_mov_b32 s15, 0x3fe55555
	v_mov_b32_e32 v13, 0x3ff00000
	v_cmp_gt_f64_e32 vcc, s[14:15], v[10:11]
	v_cndmask_b32_e64 v15, v13, 2.0, vcc
	v_mov_b32_e32 v14, 0
	v_mul_f64 v[10:11], v[10:11], v[14:15]
	v_add_f64 v[14:15], v[10:11], 1.0
	v_rcp_f64_e32 v[16:17], v[14:15]
	v_add_f64 v[20:21], v[14:15], -1.0
	v_add_f64 v[18:19], v[10:11], -1.0
	v_add_f64 v[10:11], v[10:11], -v[20:21]
	v_fma_f64 v[20:21], -v[14:15], v[16:17], 1.0
	v_fmac_f64_e32 v[16:17], v[20:21], v[16:17]
	v_fma_f64 v[20:21], -v[14:15], v[16:17], 1.0
	v_fmac_f64_e32 v[16:17], v[20:21], v[16:17]
	v_mul_f64 v[20:21], v[18:19], v[16:17]
	v_mul_f64 v[22:23], v[14:15], v[20:21]
	v_fma_f64 v[14:15], v[20:21], v[14:15], -v[22:23]
	v_fmac_f64_e32 v[14:15], v[20:21], v[10:11]
	v_add_f64 v[10:11], v[22:23], v[14:15]
	v_add_f64 v[24:25], v[18:19], -v[10:11]
	v_add_f64 v[22:23], v[10:11], -v[22:23]
	;; [unrolled: 1-line block ×5, first 2 shown]
	v_add_f64 v[10:11], v[14:15], v[10:11]
	v_add_f64 v[10:11], v[24:25], v[10:11]
	v_mul_f64 v[10:11], v[16:17], v[10:11]
	v_add_f64 v[14:15], v[20:21], v[10:11]
	v_add_f64 v[16:17], v[14:15], -v[20:21]
	s_mov_b32 s14, 0xbf559e2b
	v_add_f64 v[10:11], v[10:11], -v[16:17]
	v_mul_f64 v[16:17], v[14:15], v[14:15]
	v_mov_b32_e32 v18, 0x6b47b09a
	v_mov_b32_e32 v19, 0x3fc38538
	s_mov_b32 s15, 0x3fc3ab76
	v_fmac_f64_e32 v[18:19], s[14:15], v[16:17]
	v_mov_b32_e32 v20, 0xd7f4df2e
	v_mov_b32_e32 v21, 0x3fc7474d
	v_fmac_f64_e32 v[20:21], v[16:17], v[18:19]
	v_mov_b32_e32 v18, 0x16291751
	v_mov_b32_e32 v19, 0x3fcc71c0
	;; [unrolled: 3-line block ×5, first 2 shown]
	v_fmac_f64_e32 v[20:21], v[16:17], v[18:19]
	v_ldexp_f64 v[18:19], v[14:15], 1
	v_mul_f64 v[14:15], v[14:15], v[16:17]
	v_mul_f64 v[14:15], v[14:15], v[20:21]
	v_add_f64 v[16:17], v[18:19], v[14:15]
	v_add_f64 v[18:19], v[16:17], -v[18:19]
	v_ldexp_f64 v[10:11], v[10:11], 1
	v_add_f64 v[14:15], v[14:15], -v[18:19]
	v_add_f64 v[10:11], v[10:11], v[14:15]
	v_frexp_exp_i32_f64_e32 v1, v[4:5]
	v_add_f64 v[14:15], v[16:17], v[10:11]
	v_subbrev_co_u32_e32 v1, vcc, 0, v1, vcc
	v_add_f64 v[16:17], v[14:15], -v[16:17]
	s_mov_b32 s14, 0xfefa39ef
	v_add_f64 v[10:11], v[10:11], -v[16:17]
	v_cvt_f64_i32_e32 v[16:17], v1
	s_mov_b32 s15, 0x3fe62e42
	v_mul_f64 v[18:19], v[16:17], s[14:15]
	v_fma_f64 v[20:21], v[16:17], s[14:15], -v[18:19]
	s_mov_b32 s14, 0x3b39803f
	s_mov_b32 s15, 0x3c7abc9e
	v_fmac_f64_e32 v[20:21], s[14:15], v[16:17]
	v_add_f64 v[16:17], v[18:19], v[20:21]
	v_add_f64 v[18:19], v[16:17], -v[18:19]
	v_add_f64 v[18:19], v[20:21], -v[18:19]
	v_add_f64 v[20:21], v[16:17], v[14:15]
	v_add_f64 v[22:23], v[20:21], -v[16:17]
	v_add_f64 v[24:25], v[20:21], -v[22:23]
	;; [unrolled: 1-line block ×4, first 2 shown]
	v_add_f64 v[14:15], v[14:15], v[16:17]
	v_add_f64 v[16:17], v[18:19], v[10:11]
	v_add_f64 v[22:23], v[16:17], -v[18:19]
	v_add_f64 v[24:25], v[16:17], -v[22:23]
	v_add_f64 v[14:15], v[16:17], v[14:15]
	v_add_f64 v[18:19], v[18:19], -v[24:25]
	v_add_f64 v[10:11], v[10:11], -v[22:23]
	v_add_f64 v[16:17], v[20:21], v[14:15]
	v_add_f64 v[10:11], v[10:11], v[18:19]
	v_add_f64 v[18:19], v[16:17], -v[20:21]
	v_add_f64 v[14:15], v[14:15], -v[18:19]
	s_mov_b32 s14, 0
	v_add_f64 v[10:11], v[10:11], v[14:15]
	s_mov_b32 s15, 0x7ff00000
	v_add_f64 v[10:11], v[16:17], v[10:11]
	v_cmp_eq_f64_e32 vcc, s[14:15], v[4:5]
	v_cndmask_b32_e32 v1, v10, v4, vcc
	v_cndmask_b32_e32 v10, v11, v5, vcc
	v_mov_b32_e32 v11, 0xfff00000
	v_cmp_neq_f64_e32 vcc, 0, v[4:5]
	v_cndmask_b32_e32 v5, v11, v10, vcc
	v_cndmask_b32_e32 v4, 0, v1, vcc
	v_mul_f64 v[4:5], v[4:5], v[8:9]
	v_fma_f64 v[2:3], v[2:3], 0.5, -v[4:5]
	v_mul_f64 v[4:5], v[6:7], v[2:3]
                                        ; implicit-def: $vgpr2_vgpr3
.LBB7_192:
	s_andn2_saveexec_b64 s[12:13], s[12:13]
	s_cbranch_execz .LBB7_194
; %bb.193:
	s_mov_b32 s14, 0
	s_mov_b32 s15, 0x40200000
	v_div_scale_f64 v[4:5], s[16:17], v[2:3], v[2:3], s[14:15]
	v_rcp_f64_e32 v[6:7], v[4:5]
	s_mov_b32 s16, 0
	s_brev_b32 s17, 8
	v_fma_f64 v[8:9], -v[4:5], v[6:7], 1.0
	v_fmac_f64_e32 v[6:7], v[6:7], v[8:9]
	v_fma_f64 v[8:9], -v[4:5], v[6:7], 1.0
	v_fmac_f64_e32 v[6:7], v[6:7], v[8:9]
	v_div_scale_f64 v[8:9], vcc, s[14:15], v[2:3], s[14:15]
	v_mul_f64 v[10:11], v[8:9], v[6:7]
	v_fma_f64 v[4:5], -v[4:5], v[10:11], v[8:9]
	v_mov_b32_e32 v8, 0xcf8c9ee1
	s_nop 0
	v_div_fmas_f64 v[4:5], v[4:5], v[6:7], v[10:11]
	v_div_fixup_f64 v[4:5], v[4:5], v[2:3], s[14:15]
	s_mov_b32 s14, 0xcf8c9ee1
	v_add_f64 v[4:5], v[4:5], -2.0
	v_mov_b32_e32 v6, 0x93812603
	v_mov_b32_e32 v7, 0xbc72fecc
	s_mov_b32 s15, 0x3c5871a5
	v_fmac_f64_e32 v[6:7], s[14:15], v[4:5]
	v_mov_b32_e32 v9, 0xbc5871a5
	s_mov_b32 s14, 0x41a8cdf4
	v_fmac_f64_e32 v[8:9], v[4:5], v[6:7]
	s_mov_b32 s15, 0x3c8e092e
	v_add_f64 v[8:9], v[8:9], s[14:15]
	s_mov_b32 s14, 0x74d77641
	v_fma_f64 v[6:7], v[4:5], v[8:9], -v[6:7]
	s_mov_b32 s15, 0xbca82f94
	v_add_f64 v[6:7], v[6:7], s[14:15]
	s_mov_b32 s14, 0x6b94785b
	v_fma_f64 v[8:9], v[4:5], v[6:7], -v[8:9]
	s_mov_b32 s15, 0x3cc3dbf9
	v_add_f64 v[8:9], v[8:9], s[14:15]
	s_mov_b32 s14, 0xecfadd36
	v_fma_f64 v[6:7], v[4:5], v[8:9], -v[6:7]
	s_mov_b32 s15, 0xbce0a690
	v_add_f64 v[6:7], v[6:7], s[14:15]
	s_mov_b32 s14, 0x4a7ddc98
	v_fma_f64 v[8:9], v[4:5], v[6:7], -v[8:9]
	s_mov_b32 s15, 0x3cfc8d9c
	v_add_f64 v[8:9], v[8:9], s[14:15]
	s_mov_b32 s14, 0xbb056fc2
	v_fma_f64 v[6:7], v[4:5], v[8:9], -v[6:7]
	s_mov_b32 s15, 0xbd19145e
	v_add_f64 v[6:7], v[6:7], s[14:15]
	s_mov_b32 s14, 0xcd94cfe2
	v_fma_f64 v[8:9], v[4:5], v[6:7], -v[8:9]
	s_mov_b32 s15, 0x3d369c4e
	v_add_f64 v[8:9], v[8:9], s[14:15]
	s_mov_b32 s14, 0x21a470d1
	v_fma_f64 v[6:7], v[4:5], v[8:9], -v[6:7]
	s_mov_b32 s15, 0xbd54f877
	v_add_f64 v[6:7], v[6:7], s[14:15]
	s_mov_b32 s14, 0x2fccfc25
	v_fma_f64 v[8:9], v[4:5], v[6:7], -v[8:9]
	s_mov_b32 s15, 0x3d740fa3
	v_add_f64 v[8:9], v[8:9], s[14:15]
	s_mov_b32 s14, 0x3f005143
	v_fma_f64 v[6:7], v[4:5], v[8:9], -v[6:7]
	s_mov_b32 s15, 0xbd93dafc
	v_add_f64 v[6:7], v[6:7], s[14:15]
	s_mov_b32 s14, 0x475fbcc7
	v_fma_f64 v[8:9], v[4:5], v[6:7], -v[8:9]
	s_mov_b32 s15, 0x3db46808
	v_add_f64 v[8:9], v[8:9], s[14:15]
	s_mov_b32 s14, 0xd2e7c935
	v_fma_f64 v[6:7], v[4:5], v[8:9], -v[6:7]
	s_mov_b32 s15, 0xbdd5df95
	v_add_f64 v[6:7], v[6:7], s[14:15]
	s_mov_b32 s14, 0x819ff608
	v_fma_f64 v[8:9], v[4:5], v[6:7], -v[8:9]
	s_mov_b32 s15, 0x3df8956c
	v_add_f64 v[8:9], v[8:9], s[14:15]
	s_mov_b32 s14, 0xf22bf5db
	v_fma_f64 v[6:7], v[4:5], v[8:9], -v[6:7]
	s_mov_b32 s15, 0xbe1d29d5
	v_add_f64 v[6:7], v[6:7], s[14:15]
	s_mov_b32 s14, 0x33f428e
	v_fma_f64 v[8:9], v[4:5], v[6:7], -v[8:9]
	s_mov_b32 s15, 0x3e4269a0
	v_add_f64 v[8:9], v[8:9], s[14:15]
	s_mov_b32 s14, 0x1b54f2af
	v_fma_f64 v[6:7], v[4:5], v[8:9], -v[6:7]
	s_mov_b32 s15, 0xbe690554
	v_add_f64 v[6:7], v[6:7], s[14:15]
	s_mov_b32 s14, 0x81e3e46f
	v_fma_f64 v[8:9], v[4:5], v[6:7], -v[8:9]
	s_mov_b32 s15, 0x3e929159
	v_add_f64 v[8:9], v[8:9], s[14:15]
	s_mov_b32 s14, 0x7f18d3a9
	v_fma_f64 v[6:7], v[4:5], v[8:9], -v[6:7]
	s_mov_b32 s15, 0xbebebb54
	v_add_f64 v[6:7], v[6:7], s[14:15]
	s_mov_b32 s14, 0xcc7470a9
	v_fma_f64 v[8:9], v[4:5], v[6:7], -v[8:9]
	s_mov_b32 s15, 0x3eed413f
	v_add_f64 v[8:9], v[8:9], s[14:15]
	s_mov_b32 s14, 0xe7889f42
	v_fma_f64 v[6:7], v[4:5], v[8:9], -v[6:7]
	s_mov_b32 s15, 0xbf20d797
	v_add_f64 v[6:7], v[6:7], s[14:15]
	s_mov_b32 s14, 0xfca79342
	v_fma_f64 v[8:9], v[4:5], v[6:7], -v[8:9]
	s_mov_b32 s15, 0x3f59b891
	v_cmp_gt_f64_e32 vcc, s[16:17], v[2:3]
	v_add_f64 v[8:9], v[8:9], s[14:15]
	s_mov_b32 s14, 0x2d4ff71e
	v_cndmask_b32_e64 v1, 0, 1, vcc
	v_fma_f64 v[6:7], v[4:5], v[8:9], -v[6:7]
	s_mov_b32 s15, 0xbfa019f7
	v_lshlrev_b32_e32 v1, 8, v1
	v_add_f64 v[6:7], v[6:7], s[14:15]
	v_ldexp_f64 v[2:3], v[2:3], v1
	v_fma_f64 v[4:5], v[4:5], v[6:7], -v[8:9]
	v_rsq_f64_e32 v[6:7], v[2:3]
	s_mov_b32 s14, 0x9f4e6907
	s_mov_b32 s15, 0x400385bd
	v_add_f64 v[4:5], v[4:5], s[14:15]
	v_add_f64 v[4:5], v[4:5], -v[8:9]
	v_mul_f64 v[8:9], v[2:3], v[6:7]
	v_mul_f64 v[6:7], v[6:7], 0.5
	v_fma_f64 v[10:11], -v[6:7], v[8:9], 0.5
	v_fmac_f64_e32 v[8:9], v[8:9], v[10:11]
	v_fma_f64 v[14:15], -v[8:9], v[8:9], v[2:3]
	v_fmac_f64_e32 v[6:7], v[6:7], v[10:11]
	v_fmac_f64_e32 v[8:9], v[14:15], v[6:7]
	v_fma_f64 v[10:11], -v[8:9], v[8:9], v[2:3]
	v_mov_b32_e32 v1, 0xffffff80
	v_fmac_f64_e32 v[8:9], v[10:11], v[6:7]
	v_cndmask_b32_e32 v1, 0, v1, vcc
	v_ldexp_f64 v[6:7], v[8:9], v1
	v_mov_b32_e32 v1, 0x260
	v_cmp_class_f64_e32 vcc, v[2:3], v1
	v_mul_f64 v[4:5], v[4:5], 0.5
	v_cndmask_b32_e32 v3, v7, v3, vcc
	v_cndmask_b32_e32 v2, v6, v2, vcc
	v_div_scale_f64 v[6:7], s[14:15], v[2:3], v[2:3], v[4:5]
	v_rcp_f64_e32 v[8:9], v[6:7]
	v_fma_f64 v[10:11], -v[6:7], v[8:9], 1.0
	v_fmac_f64_e32 v[8:9], v[8:9], v[10:11]
	v_fma_f64 v[10:11], -v[6:7], v[8:9], 1.0
	v_fmac_f64_e32 v[8:9], v[8:9], v[10:11]
	v_div_scale_f64 v[10:11], vcc, v[4:5], v[2:3], v[4:5]
	v_mul_f64 v[14:15], v[10:11], v[8:9]
	v_fma_f64 v[6:7], -v[6:7], v[14:15], v[10:11]
	s_nop 1
	v_div_fmas_f64 v[6:7], v[6:7], v[8:9], v[14:15]
	v_div_fixup_f64 v[4:5], v[6:7], v[2:3], v[4:5]
.LBB7_194:
	s_or_b64 exec, exec, s[12:13]
.LBB7_195:
	s_or_b64 exec, exec, s[10:11]
.LBB7_196:
	s_or_b64 exec, exec, s[8:9]
	v_add_u32_e32 v12, 0x80, v12
	global_store_dwordx2 v0, v[4:5], s[0:1]
	s_or_b64 exec, exec, s[48:49]
	v_cmp_gt_i32_e32 vcc, s57, v12
	s_and_saveexec_b64 s[48:49], vcc
	s_cbranch_execz .LBB7_174
.LBB7_197:
	s_andn2_b64 vcc, exec, s[6:7]
	s_cbranch_vccnz .LBB7_203
; %bb.198:
	s_mov_b32 s50, 0
	s_andn2_b64 vcc, exec, s[46:47]
	v_mov_b32_e32 v2, 0
	v_mov_b32_e32 v0, 0
	s_cbranch_vccnz .LBB7_209
; %bb.199:
	s_add_i32 s58, s58, 1
	s_cmp_eq_u32 s56, 2
	s_cbranch_scc1 .LBB7_204
; %bb.200:
	s_and_b32 s50, s58, 28
	s_mov_b32 s51, 0
	v_mov_b32_e32 v0, 0
	s_mov_b64 s[46:47], s[4:5]
	v_mov_b32_e32 v3, v12
	v_mov_b32_e32 v2, 0
.LBB7_201:                              ; =>This Inner Loop Header: Depth=1
	s_load_dwordx8 s[16:23], s[46:47], 0x4
	s_load_dwordx4 s[36:39], s[46:47], 0x24
	s_load_dwordx8 s[8:15], s[44:45], 0x0
	s_add_u32 s46, s46, 48
	s_addc_u32 s47, s47, 0
	s_waitcnt lgkmcnt(0)
	v_mul_hi_u32 v1, s17, v3
	v_add_u32_e32 v1, v3, v1
	v_lshrrev_b32_e32 v1, s18, v1
	v_mul_lo_u32 v4, v1, s16
	v_mul_hi_u32 v5, s20, v1
	v_sub_u32_e32 v3, v3, v4
	v_add_u32_e32 v4, v1, v5
	v_lshrrev_b32_e32 v4, s21, v4
	v_mul_lo_u32 v6, v4, s19
	v_mul_hi_u32 v7, s23, v4
	v_sub_u32_e32 v1, v1, v6
	v_add_u32_e32 v6, v4, v7
	v_mul_lo_u32 v5, v3, s9
	v_mul_lo_u32 v3, v3, s8
	;; [unrolled: 1-line block ×4, first 2 shown]
	v_lshrrev_b32_e32 v6, s36, v6
	v_add3_u32 v0, v3, v0, v1
	v_mul_hi_u32 v3, s38, v6
	v_add_u32_e32 v3, v6, v3
	v_lshrrev_b32_e32 v3, s39, v3
	s_add_i32 s51, s51, 4
	v_add3_u32 v1, v5, v2, v7
	v_mul_lo_u32 v2, v6, s22
	v_mul_lo_u32 v5, v3, s37
	s_add_u32 s44, s44, 32
	v_sub_u32_e32 v2, v4, v2
	v_sub_u32_e32 v5, v6, v5
	s_addc_u32 s45, s45, 0
	v_mul_lo_u32 v4, v2, s12
	v_mul_lo_u32 v2, v2, s13
	;; [unrolled: 1-line block ×4, first 2 shown]
	s_cmp_eq_u32 s50, s51
	v_add3_u32 v2, v2, v1, v5
	v_add3_u32 v0, v4, v0, v6
	s_cbranch_scc0 .LBB7_201
; %bb.202:
	v_mov_b32_e32 v1, v2
	s_branch .LBB7_205
.LBB7_203:
                                        ; implicit-def: $vgpr2
                                        ; implicit-def: $vgpr0
	s_branch .LBB7_210
.LBB7_204:
	s_mov_b32 s51, s50
	v_pk_mov_b32 v[0:1], s[50:51], s[50:51] op_sel:[0,1]
                                        ; implicit-def: $vgpr2
	v_mov_b32_e32 v3, v12
.LBB7_205:
	s_and_b32 s12, s58, 3
	s_cmp_eq_u32 s12, 0
	s_cbranch_scc1 .LBB7_209
; %bb.206:
	s_lshl_b32 s8, s50, 3
	s_add_u32 s8, s8, s4
	s_addc_u32 s9, s5, 0
	s_add_u32 s8, s8, 0xc4
	s_addc_u32 s9, s9, 0
	s_mul_i32 s10, s50, 12
	s_add_u32 s10, s4, s10
	s_addc_u32 s11, s5, 0
.LBB7_207:                              ; =>This Inner Loop Header: Depth=1
	s_load_dwordx2 s[14:15], s[10:11], 0x4
	s_load_dword s13, s[10:11], 0xc
	s_load_dwordx2 s[16:17], s[8:9], 0x0
	v_mov_b32_e32 v2, v1
	s_add_u32 s10, s10, 12
	s_waitcnt lgkmcnt(0)
	v_mul_hi_u32 v1, s15, v3
	v_add_u32_e32 v1, v3, v1
	v_lshrrev_b32_e32 v1, s13, v1
	s_addc_u32 s11, s11, 0
	v_mul_lo_u32 v4, v1, s14
	s_add_u32 s8, s8, 8
	v_sub_u32_e32 v6, v3, v4
	v_mov_b32_e32 v3, v1
	s_addc_u32 s9, s9, 0
	s_add_i32 s12, s12, -1
	v_mad_u64_u32 v[4:5], s[14:15], v6, s17, v[2:3]
	v_mad_u64_u32 v[0:1], s[14:15], v6, s16, v[0:1]
	s_cmp_lg_u32 s12, 0
	v_mov_b32_e32 v1, v4
	s_cbranch_scc1 .LBB7_207
; %bb.208:
	v_mov_b32_e32 v2, v1
.LBB7_209:
	s_cbranch_execnz .LBB7_212
.LBB7_210:
	s_waitcnt lgkmcnt(0)
	v_mul_hi_u32 v0, s29, v12
	v_add_u32_e32 v0, v12, v0
	v_lshrrev_b32_e32 v1, s30, v0
	v_mul_lo_u32 v0, v1, s28
	v_sub_u32_e32 v0, v12, v0
	v_mul_lo_u32 v2, v0, s25
	s_andn2_b64 vcc, exec, s[42:43]
	v_mul_lo_u32 v0, v0, s24
	s_cbranch_vccnz .LBB7_212
; %bb.211:
	v_mul_hi_u32 v3, s40, v1
	v_add_u32_e32 v3, v1, v3
	v_lshrrev_b32_e32 v3, s41, v3
	v_mul_lo_u32 v3, v3, s31
	v_sub_u32_e32 v3, v1, v3
	v_mad_u64_u32 v[0:1], s[8:9], v3, s26, v[0:1]
	v_mad_u64_u32 v[2:3], s[8:9], v3, s27, v[2:3]
.LBB7_212:
	s_waitcnt lgkmcnt(0)
	global_load_dwordx2 v[2:3], v2, s[2:3]
	v_mov_b32_e32 v4, 0
	v_mov_b32_e32 v5, 0x7ff00000
	s_waitcnt vmcnt(0)
	v_cmp_neq_f64_e32 vcc, 0, v[2:3]
	s_and_saveexec_b64 s[2:3], vcc
	s_cbranch_execz .LBB7_224
; %bb.213:
	v_mov_b32_e32 v4, 0
	v_cmp_ngt_f64_e32 vcc, 0, v[2:3]
	v_mov_b32_e32 v5, 0x7ff80000
	s_and_saveexec_b64 s[8:9], vcc
	s_cbranch_execz .LBB7_223
; %bb.214:
	v_cmp_ge_f64_e32 vcc, 2.0, v[2:3]
                                        ; implicit-def: $vgpr4_vgpr5
	s_and_saveexec_b64 s[10:11], vcc
	s_xor_b64 s[10:11], exec, s[10:11]
	s_cbranch_execz .LBB7_220
; %bb.215:
	s_mov_b32 s12, 0
	s_mov_b32 s13, 0x40200000
	v_mul_f64 v[4:5], v[2:3], 0.5
	v_cmp_ge_f64_e32 vcc, s[12:13], v[2:3]
                                        ; implicit-def: $vgpr8_vgpr9
                                        ; implicit-def: $vgpr6_vgpr7
	s_and_saveexec_b64 s[12:13], vcc
	s_xor_b64 s[12:13], exec, s[12:13]
	s_cbranch_execz .LBB7_217
; %bb.216:
	s_mov_b32 s14, 0x2134d0ef
	v_add_f64 v[6:7], v[4:5], -2.0
	v_mov_b32_e32 v8, 0x977da589
	v_mov_b32_e32 v9, 0x3c833362
	s_mov_b32 s15, 0xbc545cb7
	v_fmac_f64_e32 v[8:9], s[14:15], v[6:7]
	v_mov_b32_e32 v10, 0x2134d0ef
	v_mov_b32_e32 v11, 0x3c545cb7
	s_mov_b32 s14, 0x721ebbb4
	v_fmac_f64_e32 v[10:11], v[6:7], v[8:9]
	s_mov_b32 s15, 0xbcb184eb
	v_add_f64 v[10:11], v[10:11], s[14:15]
	s_mov_b32 s14, 0x93f65eba
	v_fma_f64 v[8:9], v[6:7], v[10:11], -v[8:9]
	s_mov_b32 s15, 0x3cdee6d8
	v_add_f64 v[8:9], v[8:9], s[14:15]
	s_mov_b32 s14, 0xc297fbeb
	v_fma_f64 v[10:11], v[6:7], v[8:9], -v[10:11]
	;; [unrolled: 4-line block ×27, first 2 shown]
	s_mov_b32 s15, 0x3fe5a84e
	v_add_f64 v[10:11], v[6:7], s[14:15]
	s_mov_b32 s14, 0x652b82fe
	s_mov_b32 s15, 0x3ff71547
	v_mul_f64 v[6:7], v[2:3], s[14:15]
	s_mov_b32 s14, 0xfefa39ef
	v_rndne_f64_e32 v[6:7], v[6:7]
	s_mov_b32 s15, 0xbfe62e42
	v_fma_f64 v[12:13], s[14:15], v[6:7], v[2:3]
	s_mov_b32 s14, 0x3b39803f
	s_mov_b32 s15, 0xbc7abc9e
	v_fmac_f64_e32 v[12:13], s[14:15], v[6:7]
	s_mov_b32 s14, 0x6a5dcb37
	v_mov_b32_e32 v14, 0xfca7ab0c
	v_mov_b32_e32 v15, 0x3e928af3
	s_mov_b32 s15, 0x3e5ade15
	v_fmac_f64_e32 v[14:15], s[14:15], v[12:13]
	v_mov_b32_e32 v16, 0x623fde64
	v_mov_b32_e32 v17, 0x3ec71dee
	v_fmac_f64_e32 v[16:17], v[12:13], v[14:15]
	v_mov_b32_e32 v14, 0x7c89e6b0
	v_mov_b32_e32 v15, 0x3efa0199
	;; [unrolled: 3-line block ×8, first 2 shown]
	v_fmac_f64_e32 v[14:15], v[12:13], v[16:17]
	v_fma_f64 v[14:15], v[12:13], v[14:15], 1.0
	s_mov_b32 s14, 0
	v_fma_f64 v[12:13], v[12:13], v[14:15], 1.0
	v_cvt_i32_f64_e32 v1, v[6:7]
	s_mov_b32 s15, 0x40900000
	v_ldexp_f64 v[6:7], v[12:13], v1
	v_mov_b32_e32 v1, 0x7ff00000
	v_cmp_nlt_f64_e32 vcc, s[14:15], v[2:3]
	v_add_f64 v[8:9], v[10:11], -v[8:9]
	v_cndmask_b32_e32 v7, v1, v7, vcc
	v_cndmask_b32_e32 v6, 0, v6, vcc
	v_mul_f64 v[8:9], v[8:9], 0.5
	v_mul_f64 v[8:9], v[6:7], v[8:9]
.LBB7_217:
	s_andn2_saveexec_b64 s[12:13], s[12:13]
	s_cbranch_execz .LBB7_219
; %bb.218:
	s_mov_b32 s14, 0
	s_mov_b32 s15, 0x40400000
	v_div_scale_f64 v[6:7], s[16:17], v[2:3], v[2:3], s[14:15]
	v_rcp_f64_e32 v[8:9], v[6:7]
	v_mov_b32_e32 v14, 0xfca7ab0c
	v_mov_b32_e32 v15, 0x3e928af3
	;; [unrolled: 1-line block ×3, first 2 shown]
	v_fma_f64 v[10:11], -v[6:7], v[8:9], 1.0
	v_fmac_f64_e32 v[8:9], v[8:9], v[10:11]
	v_fma_f64 v[10:11], -v[6:7], v[8:9], 1.0
	v_fmac_f64_e32 v[8:9], v[8:9], v[10:11]
	v_div_scale_f64 v[10:11], vcc, s[14:15], v[2:3], s[14:15]
	v_mul_f64 v[12:13], v[10:11], v[8:9]
	v_fma_f64 v[6:7], -v[6:7], v[12:13], v[10:11]
	v_mov_b32_e32 v10, 0x54ca8b19
	s_nop 0
	v_div_fmas_f64 v[6:7], v[6:7], v[8:9], v[12:13]
	v_div_fixup_f64 v[6:7], v[6:7], v[2:3], s[14:15]
	s_mov_b32 s14, 0x54ca8b19
	v_add_f64 v[6:7], v[6:7], -2.0
	v_mov_b32_e32 v8, 0x66119130
	v_mov_b32_e32 v9, 0xbc5646da
	s_mov_b32 s15, 0xbc60adb7
	v_fmac_f64_e32 v[8:9], s[14:15], v[6:7]
	v_mov_b32_e32 v11, 0x3c60adb7
	s_mov_b32 s14, 0x12d98421
	v_fmac_f64_e32 v[10:11], v[6:7], v[8:9]
	s_mov_b32 s15, 0x3c89be18
	v_add_f64 v[10:11], v[10:11], s[14:15]
	s_mov_b32 s14, 0x76041cd
	v_fma_f64 v[8:9], v[6:7], v[10:11], -v[8:9]
	s_mov_b32 s15, 0x3c83f3dd
	v_add_f64 v[8:9], v[8:9], s[14:15]
	s_mov_b32 s14, 0xabd21fe4
	v_fma_f64 v[10:11], v[6:7], v[8:9], -v[10:11]
	;; [unrolled: 4-line block ×22, first 2 shown]
	s_mov_b32 s15, 0x3fe9be62
	v_add_f64 v[8:9], v[6:7], s[14:15]
	s_mov_b32 s14, 0x652b82fe
	s_mov_b32 s15, 0x3ff71547
	v_mul_f64 v[6:7], v[2:3], s[14:15]
	s_mov_b32 s14, 0xfefa39ef
	v_rndne_f64_e32 v[6:7], v[6:7]
	s_mov_b32 s15, 0xbfe62e42
	v_fma_f64 v[12:13], s[14:15], v[6:7], v[2:3]
	s_mov_b32 s14, 0x3b39803f
	s_mov_b32 s15, 0xbc7abc9e
	v_fmac_f64_e32 v[12:13], s[14:15], v[6:7]
	s_mov_b32 s14, 0x6a5dcb37
	s_mov_b32 s15, 0x3e5ade15
	v_fmac_f64_e32 v[14:15], s[14:15], v[12:13]
	v_mov_b32_e32 v17, 0x3ec71dee
	v_fmac_f64_e32 v[16:17], v[12:13], v[14:15]
	v_mov_b32_e32 v14, 0x7c89e6b0
	v_mov_b32_e32 v15, 0x3efa0199
	v_fmac_f64_e32 v[14:15], v[12:13], v[16:17]
	v_mov_b32_e32 v16, 0x14761f6e
	;; [unrolled: 3-line block ×7, first 2 shown]
	v_mov_b32_e32 v15, 0x3fe00000
	v_fmac_f64_e32 v[14:15], v[12:13], v[16:17]
	s_mov_b32 s14, 0
	v_fma_f64 v[14:15], v[12:13], v[14:15], 1.0
	s_mov_b32 s15, 0x40900000
	v_fma_f64 v[12:13], v[12:13], v[14:15], 1.0
	v_cvt_i32_f64_e32 v1, v[6:7]
	v_cmp_nlt_f64_e32 vcc, s[14:15], v[2:3]
	s_mov_b32 s14, 0
	v_ldexp_f64 v[6:7], v[12:13], v1
	v_mov_b32_e32 v1, 0x7ff00000
	s_brev_b32 s15, 8
	v_cndmask_b32_e32 v7, v1, v7, vcc
	v_cndmask_b32_e32 v6, 0, v6, vcc
	v_cmp_gt_f64_e32 vcc, s[14:15], v[2:3]
	v_cndmask_b32_e64 v1, 0, 1, vcc
	v_lshlrev_b32_e32 v1, 8, v1
	v_ldexp_f64 v[12:13], v[2:3], v1
	v_rsq_f64_e32 v[14:15], v[12:13]
	v_add_f64 v[8:9], v[8:9], -v[10:11]
	v_mov_b32_e32 v1, 0xffffff80
	v_cndmask_b32_e32 v1, 0, v1, vcc
	v_mul_f64 v[10:11], v[12:13], v[14:15]
	v_mul_f64 v[14:15], v[14:15], 0.5
	v_fma_f64 v[16:17], -v[14:15], v[10:11], 0.5
	v_fmac_f64_e32 v[10:11], v[10:11], v[16:17]
	v_fma_f64 v[18:19], -v[10:11], v[10:11], v[12:13]
	v_fmac_f64_e32 v[14:15], v[14:15], v[16:17]
	v_fmac_f64_e32 v[10:11], v[18:19], v[14:15]
	v_fma_f64 v[16:17], -v[10:11], v[10:11], v[12:13]
	v_fmac_f64_e32 v[10:11], v[16:17], v[14:15]
	v_ldexp_f64 v[10:11], v[10:11], v1
	v_mov_b32_e32 v1, 0x260
	v_mul_f64 v[8:9], v[8:9], 0.5
	v_cmp_class_f64_e32 vcc, v[12:13], v1
	v_mul_f64 v[8:9], v[6:7], v[8:9]
	v_cndmask_b32_e32 v11, v11, v13, vcc
	v_cndmask_b32_e32 v10, v10, v12, vcc
	v_div_scale_f64 v[12:13], s[14:15], v[10:11], v[10:11], v[8:9]
	v_rcp_f64_e32 v[14:15], v[12:13]
	v_fma_f64 v[16:17], -v[12:13], v[14:15], 1.0
	v_fmac_f64_e32 v[14:15], v[14:15], v[16:17]
	v_fma_f64 v[16:17], -v[12:13], v[14:15], 1.0
	v_fmac_f64_e32 v[14:15], v[14:15], v[16:17]
	v_div_scale_f64 v[16:17], vcc, v[8:9], v[10:11], v[8:9]
	v_mul_f64 v[18:19], v[16:17], v[14:15]
	v_fma_f64 v[12:13], -v[12:13], v[18:19], v[16:17]
	s_nop 1
	v_div_fmas_f64 v[12:13], v[12:13], v[14:15], v[18:19]
	v_div_fixup_f64 v[8:9], v[12:13], v[10:11], v[8:9]
.LBB7_219:
	s_or_b64 exec, exec, s[12:13]
	s_mov_b32 s12, 0xe6a7fd77
	v_fma_f64 v[2:3], v[2:3], v[2:3], -2.0
	v_mov_b32_e32 v10, 0xc384c2aa
	v_mov_b32_e32 v11, 0x3d27fb0a
	s_mov_b32 s13, 0x3ca3cee1
	v_fmac_f64_e32 v[10:11], s[12:13], v[2:3]
	v_mov_b32_e32 v12, 0xe6a7fd77
	v_mov_b32_e32 v13, 0xbca3cee1
	s_mov_b32 s12, 0x47512144
	v_fmac_f64_e32 v[12:13], v[2:3], v[10:11]
	s_mov_b32 s13, 0x3da6c25c
	v_add_f64 v[12:13], v[12:13], s[12:13]
	s_mov_b32 s12, 0x67e58a13
	v_fma_f64 v[10:11], v[2:3], v[12:13], -v[10:11]
	s_mov_b32 s13, 0x3e205c13
	v_add_f64 v[10:11], v[10:11], s[12:13]
	s_mov_b32 s12, 0xe7f95efc
	v_fma_f64 v[12:13], v[2:3], v[10:11], -v[12:13]
	;; [unrolled: 4-line block ×7, first 2 shown]
	s_mov_b32 s13, 0xbfe12166
	v_add_f64 v[2:3], v[2:3], s[12:13]
	s_mov_b32 s12, 0x55555555
	v_add_f64 v[2:3], v[2:3], -v[10:11]
	v_frexp_mant_f64_e32 v[10:11], v[4:5]
	s_mov_b32 s13, 0x3fe55555
	v_mov_b32_e32 v12, 0x3ff00000
	v_cmp_gt_f64_e32 vcc, s[12:13], v[10:11]
	v_cndmask_b32_e64 v13, v12, 2.0, vcc
	v_mov_b32_e32 v12, 0
	v_mul_f64 v[10:11], v[10:11], v[12:13]
	v_add_f64 v[12:13], v[10:11], 1.0
	v_rcp_f64_e32 v[14:15], v[12:13]
	v_add_f64 v[18:19], v[12:13], -1.0
	v_add_f64 v[16:17], v[10:11], -1.0
	v_add_f64 v[10:11], v[10:11], -v[18:19]
	v_fma_f64 v[18:19], -v[12:13], v[14:15], 1.0
	v_fmac_f64_e32 v[14:15], v[18:19], v[14:15]
	v_fma_f64 v[18:19], -v[12:13], v[14:15], 1.0
	v_fmac_f64_e32 v[14:15], v[18:19], v[14:15]
	v_mul_f64 v[18:19], v[16:17], v[14:15]
	v_mul_f64 v[20:21], v[12:13], v[18:19]
	v_fma_f64 v[12:13], v[18:19], v[12:13], -v[20:21]
	v_fmac_f64_e32 v[12:13], v[18:19], v[10:11]
	v_add_f64 v[10:11], v[20:21], v[12:13]
	v_add_f64 v[22:23], v[16:17], -v[10:11]
	v_add_f64 v[20:21], v[10:11], -v[20:21]
	;; [unrolled: 1-line block ×5, first 2 shown]
	v_add_f64 v[10:11], v[12:13], v[10:11]
	v_add_f64 v[10:11], v[22:23], v[10:11]
	v_mul_f64 v[10:11], v[14:15], v[10:11]
	v_add_f64 v[12:13], v[18:19], v[10:11]
	v_add_f64 v[14:15], v[12:13], -v[18:19]
	s_mov_b32 s12, 0xbf559e2b
	v_add_f64 v[10:11], v[10:11], -v[14:15]
	v_mul_f64 v[14:15], v[12:13], v[12:13]
	v_mov_b32_e32 v16, 0x6b47b09a
	v_mov_b32_e32 v17, 0x3fc38538
	s_mov_b32 s13, 0x3fc3ab76
	v_fmac_f64_e32 v[16:17], s[12:13], v[14:15]
	v_mov_b32_e32 v18, 0xd7f4df2e
	v_mov_b32_e32 v19, 0x3fc7474d
	v_fmac_f64_e32 v[18:19], v[14:15], v[16:17]
	v_mov_b32_e32 v16, 0x16291751
	v_mov_b32_e32 v17, 0x3fcc71c0
	;; [unrolled: 3-line block ×5, first 2 shown]
	v_fmac_f64_e32 v[18:19], v[14:15], v[16:17]
	v_ldexp_f64 v[16:17], v[12:13], 1
	v_mul_f64 v[12:13], v[12:13], v[14:15]
	v_mul_f64 v[12:13], v[12:13], v[18:19]
	v_add_f64 v[14:15], v[16:17], v[12:13]
	v_add_f64 v[16:17], v[14:15], -v[16:17]
	v_ldexp_f64 v[10:11], v[10:11], 1
	v_add_f64 v[12:13], v[12:13], -v[16:17]
	v_add_f64 v[10:11], v[10:11], v[12:13]
	v_frexp_exp_i32_f64_e32 v1, v[4:5]
	v_add_f64 v[12:13], v[14:15], v[10:11]
	v_subbrev_co_u32_e32 v1, vcc, 0, v1, vcc
	v_add_f64 v[14:15], v[12:13], -v[14:15]
	s_mov_b32 s12, 0xfefa39ef
	v_add_f64 v[10:11], v[10:11], -v[14:15]
	v_cvt_f64_i32_e32 v[14:15], v1
	s_mov_b32 s13, 0x3fe62e42
	v_mul_f64 v[16:17], v[14:15], s[12:13]
	v_fma_f64 v[18:19], v[14:15], s[12:13], -v[16:17]
	s_mov_b32 s12, 0x3b39803f
	s_mov_b32 s13, 0x3c7abc9e
	v_fmac_f64_e32 v[18:19], s[12:13], v[14:15]
	v_add_f64 v[14:15], v[16:17], v[18:19]
	v_add_f64 v[16:17], v[14:15], -v[16:17]
	v_add_f64 v[16:17], v[18:19], -v[16:17]
	v_add_f64 v[18:19], v[14:15], v[12:13]
	v_add_f64 v[20:21], v[18:19], -v[14:15]
	v_add_f64 v[22:23], v[18:19], -v[20:21]
	;; [unrolled: 1-line block ×4, first 2 shown]
	v_add_f64 v[12:13], v[12:13], v[14:15]
	v_add_f64 v[14:15], v[16:17], v[10:11]
	v_add_f64 v[20:21], v[14:15], -v[16:17]
	v_add_f64 v[22:23], v[14:15], -v[20:21]
	v_add_f64 v[12:13], v[14:15], v[12:13]
	v_add_f64 v[16:17], v[16:17], -v[22:23]
	v_add_f64 v[10:11], v[10:11], -v[20:21]
	v_add_f64 v[14:15], v[18:19], v[12:13]
	v_add_f64 v[10:11], v[10:11], v[16:17]
	v_add_f64 v[16:17], v[14:15], -v[18:19]
	v_add_f64 v[12:13], v[12:13], -v[16:17]
	s_mov_b32 s12, 0
	v_add_f64 v[10:11], v[10:11], v[12:13]
	s_mov_b32 s13, 0x7ff00000
	v_add_f64 v[10:11], v[14:15], v[10:11]
	v_cmp_eq_f64_e32 vcc, s[12:13], v[4:5]
	v_cndmask_b32_e32 v1, v10, v4, vcc
	v_cndmask_b32_e32 v10, v11, v5, vcc
	v_mov_b32_e32 v11, 0xfff00000
	v_cmp_neq_f64_e32 vcc, 0, v[4:5]
	v_cndmask_b32_e32 v5, v11, v10, vcc
	v_cndmask_b32_e32 v4, 0, v1, vcc
	v_mul_f64 v[4:5], v[4:5], v[8:9]
	v_fma_f64 v[2:3], v[2:3], 0.5, -v[4:5]
	v_mul_f64 v[4:5], v[6:7], v[2:3]
                                        ; implicit-def: $vgpr2_vgpr3
.LBB7_220:
	s_andn2_saveexec_b64 s[10:11], s[10:11]
	s_cbranch_execz .LBB7_222
; %bb.221:
	s_mov_b32 s12, 0
	s_mov_b32 s13, 0x40200000
	v_div_scale_f64 v[4:5], s[14:15], v[2:3], v[2:3], s[12:13]
	v_rcp_f64_e32 v[6:7], v[4:5]
	s_mov_b32 s14, 0
	s_brev_b32 s15, 8
	v_fma_f64 v[8:9], -v[4:5], v[6:7], 1.0
	v_fmac_f64_e32 v[6:7], v[6:7], v[8:9]
	v_fma_f64 v[8:9], -v[4:5], v[6:7], 1.0
	v_fmac_f64_e32 v[6:7], v[6:7], v[8:9]
	v_div_scale_f64 v[8:9], vcc, s[12:13], v[2:3], s[12:13]
	v_mul_f64 v[10:11], v[8:9], v[6:7]
	v_fma_f64 v[4:5], -v[4:5], v[10:11], v[8:9]
	v_mov_b32_e32 v8, 0xcf8c9ee1
	s_nop 0
	v_div_fmas_f64 v[4:5], v[4:5], v[6:7], v[10:11]
	v_div_fixup_f64 v[4:5], v[4:5], v[2:3], s[12:13]
	s_mov_b32 s12, 0xcf8c9ee1
	v_add_f64 v[4:5], v[4:5], -2.0
	v_mov_b32_e32 v6, 0x93812603
	v_mov_b32_e32 v7, 0xbc72fecc
	s_mov_b32 s13, 0x3c5871a5
	v_fmac_f64_e32 v[6:7], s[12:13], v[4:5]
	v_mov_b32_e32 v9, 0xbc5871a5
	s_mov_b32 s12, 0x41a8cdf4
	v_fmac_f64_e32 v[8:9], v[4:5], v[6:7]
	s_mov_b32 s13, 0x3c8e092e
	v_add_f64 v[8:9], v[8:9], s[12:13]
	s_mov_b32 s12, 0x74d77641
	v_fma_f64 v[6:7], v[4:5], v[8:9], -v[6:7]
	s_mov_b32 s13, 0xbca82f94
	v_add_f64 v[6:7], v[6:7], s[12:13]
	s_mov_b32 s12, 0x6b94785b
	v_fma_f64 v[8:9], v[4:5], v[6:7], -v[8:9]
	;; [unrolled: 4-line block ×20, first 2 shown]
	s_mov_b32 s13, 0x3f59b891
	v_cmp_gt_f64_e32 vcc, s[14:15], v[2:3]
	v_add_f64 v[8:9], v[8:9], s[12:13]
	s_mov_b32 s12, 0x2d4ff71e
	v_cndmask_b32_e64 v1, 0, 1, vcc
	v_fma_f64 v[6:7], v[4:5], v[8:9], -v[6:7]
	s_mov_b32 s13, 0xbfa019f7
	v_lshlrev_b32_e32 v1, 8, v1
	v_add_f64 v[6:7], v[6:7], s[12:13]
	v_ldexp_f64 v[2:3], v[2:3], v1
	v_fma_f64 v[4:5], v[4:5], v[6:7], -v[8:9]
	v_rsq_f64_e32 v[6:7], v[2:3]
	s_mov_b32 s12, 0x9f4e6907
	s_mov_b32 s13, 0x400385bd
	v_add_f64 v[4:5], v[4:5], s[12:13]
	v_add_f64 v[4:5], v[4:5], -v[8:9]
	v_mul_f64 v[8:9], v[2:3], v[6:7]
	v_mul_f64 v[6:7], v[6:7], 0.5
	v_fma_f64 v[10:11], -v[6:7], v[8:9], 0.5
	v_fmac_f64_e32 v[8:9], v[8:9], v[10:11]
	v_fma_f64 v[12:13], -v[8:9], v[8:9], v[2:3]
	v_fmac_f64_e32 v[6:7], v[6:7], v[10:11]
	v_fmac_f64_e32 v[8:9], v[12:13], v[6:7]
	v_fma_f64 v[10:11], -v[8:9], v[8:9], v[2:3]
	v_mov_b32_e32 v1, 0xffffff80
	v_fmac_f64_e32 v[8:9], v[10:11], v[6:7]
	v_cndmask_b32_e32 v1, 0, v1, vcc
	v_ldexp_f64 v[6:7], v[8:9], v1
	v_mov_b32_e32 v1, 0x260
	v_cmp_class_f64_e32 vcc, v[2:3], v1
	v_mul_f64 v[4:5], v[4:5], 0.5
	v_cndmask_b32_e32 v3, v7, v3, vcc
	v_cndmask_b32_e32 v2, v6, v2, vcc
	v_div_scale_f64 v[6:7], s[12:13], v[2:3], v[2:3], v[4:5]
	v_rcp_f64_e32 v[8:9], v[6:7]
	v_fma_f64 v[10:11], -v[6:7], v[8:9], 1.0
	v_fmac_f64_e32 v[8:9], v[8:9], v[10:11]
	v_fma_f64 v[10:11], -v[6:7], v[8:9], 1.0
	v_fmac_f64_e32 v[8:9], v[8:9], v[10:11]
	v_div_scale_f64 v[10:11], vcc, v[4:5], v[2:3], v[4:5]
	v_mul_f64 v[12:13], v[10:11], v[8:9]
	v_fma_f64 v[6:7], -v[6:7], v[12:13], v[10:11]
	s_nop 1
	v_div_fmas_f64 v[6:7], v[6:7], v[8:9], v[12:13]
	v_div_fixup_f64 v[4:5], v[6:7], v[2:3], v[4:5]
.LBB7_222:
	s_or_b64 exec, exec, s[10:11]
.LBB7_223:
	s_or_b64 exec, exec, s[8:9]
.LBB7_224:
	s_or_b64 exec, exec, s[2:3]
	global_store_dwordx2 v0, v[4:5], s[0:1]
	s_or_b64 exec, exec, s[48:49]
                                        ; implicit-def: $vgpr9
                                        ; implicit-def: $vgpr12
	s_andn2_saveexec_b64 s[0:1], s[34:35]
	s_cbranch_execz .LBB7_175
	s_branch .LBB7_9
	.section	.rodata,"a",@progbits
	.p2align	6, 0x0
	.amdhsa_kernel _ZN2at6native32elementwise_kernel_manual_unrollILi128ELi4EZNS0_22gpu_kernel_impl_nocastIZZZNS0_12_GLOBAL__N_137scaled_modified_bessel_k0_kernel_cudaERNS_18TensorIteratorBaseEENKUlvE_clEvENKUlvE_clEvEUldE_EEvS5_RKT_EUlibE_EEviT1_
		.amdhsa_group_segment_fixed_size 0
		.amdhsa_private_segment_fixed_size 0
		.amdhsa_kernarg_size 360
		.amdhsa_user_sgpr_count 6
		.amdhsa_user_sgpr_private_segment_buffer 1
		.amdhsa_user_sgpr_dispatch_ptr 0
		.amdhsa_user_sgpr_queue_ptr 0
		.amdhsa_user_sgpr_kernarg_segment_ptr 1
		.amdhsa_user_sgpr_dispatch_id 0
		.amdhsa_user_sgpr_flat_scratch_init 0
		.amdhsa_user_sgpr_kernarg_preload_length 0
		.amdhsa_user_sgpr_kernarg_preload_offset 0
		.amdhsa_user_sgpr_private_segment_size 0
		.amdhsa_uses_dynamic_stack 0
		.amdhsa_system_sgpr_private_segment_wavefront_offset 0
		.amdhsa_system_sgpr_workgroup_id_x 1
		.amdhsa_system_sgpr_workgroup_id_y 0
		.amdhsa_system_sgpr_workgroup_id_z 0
		.amdhsa_system_sgpr_workgroup_info 0
		.amdhsa_system_vgpr_workitem_id 0
		.amdhsa_next_free_vgpr 38
		.amdhsa_next_free_sgpr 60
		.amdhsa_accum_offset 40
		.amdhsa_reserve_vcc 1
		.amdhsa_reserve_flat_scratch 0
		.amdhsa_float_round_mode_32 0
		.amdhsa_float_round_mode_16_64 0
		.amdhsa_float_denorm_mode_32 3
		.amdhsa_float_denorm_mode_16_64 3
		.amdhsa_dx10_clamp 1
		.amdhsa_ieee_mode 1
		.amdhsa_fp16_overflow 0
		.amdhsa_tg_split 0
		.amdhsa_exception_fp_ieee_invalid_op 0
		.amdhsa_exception_fp_denorm_src 0
		.amdhsa_exception_fp_ieee_div_zero 0
		.amdhsa_exception_fp_ieee_overflow 0
		.amdhsa_exception_fp_ieee_underflow 0
		.amdhsa_exception_fp_ieee_inexact 0
		.amdhsa_exception_int_div_zero 0
	.end_amdhsa_kernel
	.section	.text._ZN2at6native32elementwise_kernel_manual_unrollILi128ELi4EZNS0_22gpu_kernel_impl_nocastIZZZNS0_12_GLOBAL__N_137scaled_modified_bessel_k0_kernel_cudaERNS_18TensorIteratorBaseEENKUlvE_clEvENKUlvE_clEvEUldE_EEvS5_RKT_EUlibE_EEviT1_,"axG",@progbits,_ZN2at6native32elementwise_kernel_manual_unrollILi128ELi4EZNS0_22gpu_kernel_impl_nocastIZZZNS0_12_GLOBAL__N_137scaled_modified_bessel_k0_kernel_cudaERNS_18TensorIteratorBaseEENKUlvE_clEvENKUlvE_clEvEUldE_EEvS5_RKT_EUlibE_EEviT1_,comdat
.Lfunc_end7:
	.size	_ZN2at6native32elementwise_kernel_manual_unrollILi128ELi4EZNS0_22gpu_kernel_impl_nocastIZZZNS0_12_GLOBAL__N_137scaled_modified_bessel_k0_kernel_cudaERNS_18TensorIteratorBaseEENKUlvE_clEvENKUlvE_clEvEUldE_EEvS5_RKT_EUlibE_EEviT1_, .Lfunc_end7-_ZN2at6native32elementwise_kernel_manual_unrollILi128ELi4EZNS0_22gpu_kernel_impl_nocastIZZZNS0_12_GLOBAL__N_137scaled_modified_bessel_k0_kernel_cudaERNS_18TensorIteratorBaseEENKUlvE_clEvENKUlvE_clEvEUldE_EEvS5_RKT_EUlibE_EEviT1_
                                        ; -- End function
	.section	.AMDGPU.csdata,"",@progbits
; Kernel info:
; codeLenInByte = 46408
; NumSgprs: 64
; NumVgprs: 38
; NumAgprs: 0
; TotalNumVgprs: 38
; ScratchSize: 0
; MemoryBound: 0
; FloatMode: 240
; IeeeMode: 1
; LDSByteSize: 0 bytes/workgroup (compile time only)
; SGPRBlocks: 7
; VGPRBlocks: 4
; NumSGPRsForWavesPerEU: 64
; NumVGPRsForWavesPerEU: 38
; AccumOffset: 40
; Occupancy: 8
; WaveLimiterHint : 1
; COMPUTE_PGM_RSRC2:SCRATCH_EN: 0
; COMPUTE_PGM_RSRC2:USER_SGPR: 6
; COMPUTE_PGM_RSRC2:TRAP_HANDLER: 0
; COMPUTE_PGM_RSRC2:TGID_X_EN: 1
; COMPUTE_PGM_RSRC2:TGID_Y_EN: 0
; COMPUTE_PGM_RSRC2:TGID_Z_EN: 0
; COMPUTE_PGM_RSRC2:TIDIG_COMP_CNT: 0
; COMPUTE_PGM_RSRC3_GFX90A:ACCUM_OFFSET: 9
; COMPUTE_PGM_RSRC3_GFX90A:TG_SPLIT: 0
	.text
	.p2align	2                               ; -- Begin function _ZN2at6native6invokeIZZZNS0_12_GLOBAL__N_137scaled_modified_bessel_k0_kernel_cudaERNS_18TensorIteratorBaseEENKUlvE_clEvENKUlvE_clEvEUldE_i15function_traitsIS7_EEENT1_11result_typeERKT_PrKPcPKT0_PKN3c1010ScalarTypeEi
	.type	_ZN2at6native6invokeIZZZNS0_12_GLOBAL__N_137scaled_modified_bessel_k0_kernel_cudaERNS_18TensorIteratorBaseEENKUlvE_clEvENKUlvE_clEvEUldE_i15function_traitsIS7_EEENT1_11result_typeERKT_PrKPcPKT0_PKN3c1010ScalarTypeEi,@function
_ZN2at6native6invokeIZZZNS0_12_GLOBAL__N_137scaled_modified_bessel_k0_kernel_cudaERNS_18TensorIteratorBaseEENKUlvE_clEvENKUlvE_clEvEUldE_i15function_traitsIS7_EEENT1_11result_typeERKT_PrKPcPKT0_PKN3c1010ScalarTypeEi: ; @_ZN2at6native6invokeIZZZNS0_12_GLOBAL__N_137scaled_modified_bessel_k0_kernel_cudaERNS_18TensorIteratorBaseEENKUlvE_clEvENKUlvE_clEvEUldE_i15function_traitsIS7_EEENT1_11result_typeERKT_PrKPcPKT0_PKN3c1010ScalarTypeEi
; %bb.0:
	s_waitcnt vmcnt(0) expcnt(0) lgkmcnt(0)
	v_mul_lo_u32 v2, v4, v2
	v_ashrrev_i32_e32 v4, 31, v2
	v_add_co_u32_e32 v0, vcc, v0, v2
	v_mov_b32_e32 v2, 10
	v_addc_co_u32_e32 v1, vcc, v1, v4, vcc
	v_cmp_gt_i16_sdwa s[4:5], v3, v2 src0_sel:BYTE_0 src1_sel:DWORD
	s_mov_b64 s[6:7], 0
                                        ; implicit-def: $vgpr4_vgpr5
	s_and_saveexec_b64 s[8:9], s[4:5]
	s_xor_b64 s[4:5], exec, s[8:9]
	s_cbranch_execnz .LBB8_4
; %bb.1:
	s_andn2_saveexec_b64 s[4:5], s[4:5]
	s_cbranch_execnz .LBB8_10
.LBB8_2:
	s_or_b64 exec, exec, s[4:5]
                                        ; implicit-def: $vgpr0_vgpr1
	s_and_saveexec_b64 s[4:5], s[6:7]
	s_cbranch_execnz .LBB8_51
.LBB8_3:
	s_or_b64 exec, exec, s[4:5]
	s_waitcnt vmcnt(0) lgkmcnt(0)
	s_setpc_b64 s[30:31]
.LBB8_4:
	v_mov_b32_e32 v2, 25
	v_cmp_gt_i16_sdwa s[10:11], v3, v2 src0_sel:BYTE_0 src1_sel:DWORD
	s_mov_b64 s[12:13], 0
	s_mov_b64 s[8:9], 0
                                        ; implicit-def: $vgpr4_vgpr5
	s_and_saveexec_b64 s[14:15], s[10:11]
	s_xor_b64 s[10:11], exec, s[14:15]
	s_cbranch_execnz .LBB8_64
; %bb.5:
	s_andn2_saveexec_b64 s[10:11], s[10:11]
	s_cbranch_execnz .LBB8_95
.LBB8_6:
	s_or_b64 exec, exec, s[10:11]
	s_and_saveexec_b64 s[10:11], s[12:13]
	s_cbranch_execnz .LBB8_118
.LBB8_7:
	s_or_b64 exec, exec, s[10:11]
	s_and_saveexec_b64 s[10:11], s[6:7]
	s_xor_b64 s[6:7], exec, s[10:11]
	s_cbranch_execz .LBB8_9
.LBB8_8:
	flat_load_ubyte v0, v[0:1]
	v_mov_b32_e32 v1, 0x3ff00000
	v_mov_b32_e32 v4, 0
	s_or_b64 s[8:9], s[8:9], exec
	s_waitcnt vmcnt(0) lgkmcnt(0)
	v_cmp_ne_u16_e32 vcc, 0, v0
	v_cndmask_b32_e32 v5, 0, v1, vcc
.LBB8_9:
	s_or_b64 exec, exec, s[6:7]
	s_and_b64 s[6:7], s[8:9], exec
                                        ; implicit-def: $vgpr3
                                        ; implicit-def: $vgpr0_vgpr1
	s_andn2_saveexec_b64 s[4:5], s[4:5]
	s_cbranch_execz .LBB8_2
.LBB8_10:
	v_mov_b32_e32 v2, 4
	v_cmp_gt_i16_sdwa s[8:9], v3, v2 src0_sel:BYTE_0 src1_sel:DWORD
                                        ; implicit-def: $vgpr4_vgpr5
	s_and_saveexec_b64 s[10:11], s[8:9]
	s_xor_b64 s[8:9], exec, s[10:11]
	s_cbranch_execz .LBB8_32
; %bb.11:
	v_mov_b32_e32 v2, 7
	v_cmp_gt_i16_sdwa s[10:11], v3, v2 src0_sel:BYTE_0 src1_sel:DWORD
                                        ; implicit-def: $vgpr4_vgpr5
	s_and_saveexec_b64 s[12:13], s[10:11]
	s_xor_b64 s[10:11], exec, s[12:13]
	s_cbranch_execz .LBB8_21
; %bb.12:
	;; [unrolled: 7-line block ×4, first 2 shown]
	flat_load_dwordx2 v[4:5], v[0:1]
                                        ; implicit-def: $vgpr0_vgpr1
.LBB8_15:
	s_andn2_saveexec_b64 s[14:15], s[14:15]
	s_cbranch_execz .LBB8_17
; %bb.16:
	flat_load_dword v0, v[0:1]
	s_waitcnt vmcnt(0) lgkmcnt(0)
	v_cvt_f64_f32_e32 v[4:5], v0
.LBB8_17:
	s_or_b64 exec, exec, s[14:15]
                                        ; implicit-def: $vgpr0_vgpr1
.LBB8_18:
	s_andn2_saveexec_b64 s[12:13], s[12:13]
	s_cbranch_execz .LBB8_20
; %bb.19:
	flat_load_dword v0, v[0:1]
	s_waitcnt vmcnt(0) lgkmcnt(0)
	v_cvt_f32_f16_e32 v0, v0
	v_cvt_f64_f32_e32 v[4:5], v0
.LBB8_20:
	s_or_b64 exec, exec, s[12:13]
                                        ; implicit-def: $vgpr0_vgpr1
                                        ; implicit-def: $vgpr3
.LBB8_21:
	s_andn2_saveexec_b64 s[10:11], s[10:11]
	s_cbranch_execz .LBB8_31
; %bb.22:
	v_mov_b32_e32 v2, 5
	v_cmp_gt_i16_sdwa s[12:13], v3, v2 src0_sel:BYTE_0 src1_sel:DWORD
                                        ; implicit-def: $vgpr4_vgpr5
	s_and_saveexec_b64 s[14:15], s[12:13]
	s_xor_b64 s[12:13], exec, s[14:15]
	s_cbranch_execz .LBB8_28
; %bb.23:
	v_mov_b32_e32 v2, 6
	v_cmp_gt_i16_sdwa s[14:15], v3, v2 src0_sel:BYTE_0 src1_sel:DWORD
                                        ; implicit-def: $vgpr4_vgpr5
	s_and_saveexec_b64 s[16:17], s[14:15]
	s_xor_b64 s[14:15], exec, s[16:17]
	s_cbranch_execz .LBB8_25
; %bb.24:
	s_waitcnt vmcnt(0) lgkmcnt(0)
	flat_load_dwordx2 v[4:5], v[0:1]
                                        ; implicit-def: $vgpr0_vgpr1
.LBB8_25:
	s_andn2_saveexec_b64 s[14:15], s[14:15]
	s_cbranch_execz .LBB8_27
; %bb.26:
	flat_load_dword v0, v[0:1]
	s_waitcnt vmcnt(0) lgkmcnt(0)
	v_cvt_f64_f32_e32 v[4:5], v0
.LBB8_27:
	s_or_b64 exec, exec, s[14:15]
                                        ; implicit-def: $vgpr0_vgpr1
.LBB8_28:
	s_andn2_saveexec_b64 s[12:13], s[12:13]
	s_cbranch_execz .LBB8_30
; %bb.29:
	flat_load_ushort v0, v[0:1]
	s_waitcnt vmcnt(0) lgkmcnt(0)
	v_cvt_f32_f16_e32 v0, v0
	v_cvt_f64_f32_e32 v[4:5], v0
.LBB8_30:
	s_or_b64 exec, exec, s[12:13]
.LBB8_31:
	s_or_b64 exec, exec, s[10:11]
                                        ; implicit-def: $vgpr3
                                        ; implicit-def: $vgpr0_vgpr1
.LBB8_32:
	s_andn2_saveexec_b64 s[8:9], s[8:9]
	s_cbranch_execz .LBB8_50
; %bb.33:
	v_mov_b32_e32 v2, 1
	v_cmp_gt_i16_sdwa s[10:11], v3, v2 src0_sel:BYTE_0 src1_sel:DWORD
                                        ; implicit-def: $vgpr4_vgpr5
	s_and_saveexec_b64 s[12:13], s[10:11]
	s_xor_b64 s[10:11], exec, s[12:13]
	s_cbranch_execz .LBB8_43
; %bb.34:
	v_mov_b32_e32 v2, 2
	v_cmp_gt_i16_sdwa s[12:13], v3, v2 src0_sel:BYTE_0 src1_sel:DWORD
                                        ; implicit-def: $vgpr4_vgpr5
	s_and_saveexec_b64 s[14:15], s[12:13]
	s_xor_b64 s[12:13], exec, s[14:15]
	;; [unrolled: 7-line block ×3, first 2 shown]
	s_cbranch_execz .LBB8_37
; %bb.36:
	flat_load_dwordx2 v[0:1], v[0:1]
	s_waitcnt vmcnt(0) lgkmcnt(0)
	v_cvt_f64_i32_e32 v[2:3], v1
	v_ldexp_f64 v[2:3], v[2:3], 32
	v_cvt_f64_u32_e32 v[0:1], v0
	v_add_f64 v[4:5], v[2:3], v[0:1]
                                        ; implicit-def: $vgpr0_vgpr1
.LBB8_37:
	s_andn2_saveexec_b64 s[14:15], s[14:15]
	s_cbranch_execz .LBB8_39
; %bb.38:
	flat_load_dword v0, v[0:1]
	s_waitcnt vmcnt(0) lgkmcnt(0)
	v_cvt_f64_i32_e32 v[4:5], v0
.LBB8_39:
	s_or_b64 exec, exec, s[14:15]
                                        ; implicit-def: $vgpr0_vgpr1
.LBB8_40:
	s_andn2_saveexec_b64 s[12:13], s[12:13]
	s_cbranch_execz .LBB8_42
; %bb.41:
	flat_load_sshort v0, v[0:1]
	s_waitcnt vmcnt(0) lgkmcnt(0)
	v_cvt_f64_i32_e32 v[4:5], v0
.LBB8_42:
	s_or_b64 exec, exec, s[12:13]
                                        ; implicit-def: $vgpr0_vgpr1
                                        ; implicit-def: $vgpr3
.LBB8_43:
	s_andn2_saveexec_b64 s[10:11], s[10:11]
	s_cbranch_execz .LBB8_49
; %bb.44:
	v_mov_b32_e32 v2, 0
	v_cmp_gt_i16_sdwa s[12:13], v3, v2 src0_sel:BYTE_0 src1_sel:DWORD
                                        ; implicit-def: $vgpr4_vgpr5
	s_and_saveexec_b64 s[14:15], s[12:13]
	s_xor_b64 s[12:13], exec, s[14:15]
	s_cbranch_execz .LBB8_46
; %bb.45:
	flat_load_sbyte v0, v[0:1]
	s_waitcnt vmcnt(0) lgkmcnt(0)
	v_cvt_f64_i32_e32 v[4:5], v0
                                        ; implicit-def: $vgpr0_vgpr1
.LBB8_46:
	s_andn2_saveexec_b64 s[12:13], s[12:13]
	s_cbranch_execz .LBB8_48
; %bb.47:
	flat_load_ubyte v0, v[0:1]
	s_waitcnt vmcnt(0) lgkmcnt(0)
	v_cvt_f64_u32_e32 v[4:5], v0
.LBB8_48:
	s_or_b64 exec, exec, s[12:13]
.LBB8_49:
	s_or_b64 exec, exec, s[10:11]
.LBB8_50:
	s_or_b64 exec, exec, s[8:9]
	s_or_b64 s[6:7], s[6:7], exec
	s_or_b64 exec, exec, s[4:5]
                                        ; implicit-def: $vgpr0_vgpr1
	s_and_saveexec_b64 s[4:5], s[6:7]
	s_cbranch_execz .LBB8_3
.LBB8_51:
	v_mov_b32_e32 v0, 0
	s_waitcnt vmcnt(0) lgkmcnt(0)
	v_cmp_neq_f64_e32 vcc, 0, v[4:5]
	v_mov_b32_e32 v1, 0x7ff00000
	s_and_saveexec_b64 s[6:7], vcc
	s_cbranch_execz .LBB8_63
; %bb.52:
	v_mov_b32_e32 v0, 0
	v_cmp_ngt_f64_e32 vcc, 0, v[4:5]
	v_mov_b32_e32 v1, 0x7ff80000
	s_and_saveexec_b64 s[8:9], vcc
	s_cbranch_execz .LBB8_62
; %bb.53:
	v_cmp_ge_f64_e32 vcc, 2.0, v[4:5]
                                        ; implicit-def: $vgpr0_vgpr1
	s_and_saveexec_b64 s[10:11], vcc
	s_xor_b64 s[10:11], exec, s[10:11]
	s_cbranch_execz .LBB8_59
; %bb.54:
	s_mov_b32 s12, 0
	s_mov_b32 s13, 0x40200000
	v_mul_f64 v[0:1], v[4:5], 0.5
	v_cmp_ge_f64_e32 vcc, s[12:13], v[4:5]
                                        ; implicit-def: $vgpr6_vgpr7
                                        ; implicit-def: $vgpr2_vgpr3
	s_and_saveexec_b64 s[12:13], vcc
	s_xor_b64 s[12:13], exec, s[12:13]
	s_cbranch_execz .LBB8_56
; %bb.55:
	s_mov_b32 s14, 0x2134d0ef
	v_add_f64 v[2:3], v[0:1], -2.0
	v_mov_b32_e32 v6, 0x977da589
	v_mov_b32_e32 v7, 0x3c833362
	s_mov_b32 s15, 0xbc545cb7
	v_fmac_f64_e32 v[6:7], s[14:15], v[2:3]
	v_mov_b32_e32 v8, 0x2134d0ef
	v_mov_b32_e32 v9, 0x3c545cb7
	s_mov_b32 s14, 0x721ebbb4
	v_fmac_f64_e32 v[8:9], v[2:3], v[6:7]
	s_mov_b32 s15, 0xbcb184eb
	v_add_f64 v[8:9], v[8:9], s[14:15]
	s_mov_b32 s14, 0x93f65eba
	v_fma_f64 v[6:7], v[2:3], v[8:9], -v[6:7]
	s_mov_b32 s15, 0x3cdee6d8
	v_add_f64 v[6:7], v[6:7], s[14:15]
	s_mov_b32 s14, 0xc297fbeb
	v_fma_f64 v[8:9], v[2:3], v[6:7], -v[8:9]
	;; [unrolled: 4-line block ×27, first 2 shown]
	s_mov_b32 s15, 0x3fe5a84e
	v_add_f64 v[8:9], v[2:3], s[14:15]
	s_mov_b32 s14, 0x652b82fe
	s_mov_b32 s15, 0x3ff71547
	v_mul_f64 v[2:3], v[4:5], s[14:15]
	s_mov_b32 s14, 0xfefa39ef
	v_rndne_f64_e32 v[2:3], v[2:3]
	s_mov_b32 s15, 0xbfe62e42
	v_fma_f64 v[10:11], s[14:15], v[2:3], v[4:5]
	s_mov_b32 s14, 0x3b39803f
	s_mov_b32 s15, 0xbc7abc9e
	v_fmac_f64_e32 v[10:11], s[14:15], v[2:3]
	s_mov_b32 s14, 0x6a5dcb37
	v_mov_b32_e32 v12, 0xfca7ab0c
	v_mov_b32_e32 v13, 0x3e928af3
	s_mov_b32 s15, 0x3e5ade15
	v_fmac_f64_e32 v[12:13], s[14:15], v[10:11]
	v_mov_b32_e32 v14, 0x623fde64
	v_mov_b32_e32 v15, 0x3ec71dee
	v_fmac_f64_e32 v[14:15], v[10:11], v[12:13]
	v_mov_b32_e32 v12, 0x7c89e6b0
	v_mov_b32_e32 v13, 0x3efa0199
	;; [unrolled: 3-line block ×8, first 2 shown]
	v_fmac_f64_e32 v[12:13], v[10:11], v[14:15]
	v_fma_f64 v[12:13], v[10:11], v[12:13], 1.0
	s_mov_b32 s14, 0
	v_fma_f64 v[10:11], v[10:11], v[12:13], 1.0
	v_cvt_i32_f64_e32 v2, v[2:3]
	s_mov_b32 s15, 0x40900000
	v_ldexp_f64 v[2:3], v[10:11], v2
	v_mov_b32_e32 v10, 0x7ff00000
	v_cmp_nlt_f64_e32 vcc, s[14:15], v[4:5]
	v_add_f64 v[6:7], v[8:9], -v[6:7]
	v_cndmask_b32_e32 v3, v10, v3, vcc
	v_cndmask_b32_e32 v2, 0, v2, vcc
	v_mul_f64 v[6:7], v[6:7], 0.5
	v_mul_f64 v[6:7], v[2:3], v[6:7]
.LBB8_56:
	s_andn2_saveexec_b64 s[12:13], s[12:13]
	s_cbranch_execz .LBB8_58
; %bb.57:
	s_mov_b32 s14, 0
	s_mov_b32 s15, 0x40400000
	v_div_scale_f64 v[2:3], s[16:17], v[4:5], v[4:5], s[14:15]
	v_rcp_f64_e32 v[6:7], v[2:3]
	v_mov_b32_e32 v12, 0xfca7ab0c
	v_mov_b32_e32 v13, 0x3e928af3
	;; [unrolled: 1-line block ×3, first 2 shown]
	v_fma_f64 v[8:9], -v[2:3], v[6:7], 1.0
	v_fmac_f64_e32 v[6:7], v[6:7], v[8:9]
	v_fma_f64 v[8:9], -v[2:3], v[6:7], 1.0
	v_fmac_f64_e32 v[6:7], v[6:7], v[8:9]
	v_div_scale_f64 v[8:9], vcc, s[14:15], v[4:5], s[14:15]
	v_mul_f64 v[10:11], v[8:9], v[6:7]
	v_fma_f64 v[2:3], -v[2:3], v[10:11], v[8:9]
	v_mov_b32_e32 v8, 0x54ca8b19
	s_nop 0
	v_div_fmas_f64 v[2:3], v[2:3], v[6:7], v[10:11]
	v_div_fixup_f64 v[2:3], v[2:3], v[4:5], s[14:15]
	s_mov_b32 s14, 0x54ca8b19
	v_add_f64 v[2:3], v[2:3], -2.0
	v_mov_b32_e32 v6, 0x66119130
	v_mov_b32_e32 v7, 0xbc5646da
	s_mov_b32 s15, 0xbc60adb7
	v_fmac_f64_e32 v[6:7], s[14:15], v[2:3]
	v_mov_b32_e32 v9, 0x3c60adb7
	s_mov_b32 s14, 0x12d98421
	v_fmac_f64_e32 v[8:9], v[2:3], v[6:7]
	s_mov_b32 s15, 0x3c89be18
	v_add_f64 v[8:9], v[8:9], s[14:15]
	s_mov_b32 s14, 0x76041cd
	v_fma_f64 v[6:7], v[2:3], v[8:9], -v[6:7]
	s_mov_b32 s15, 0x3c83f3dd
	v_add_f64 v[6:7], v[6:7], s[14:15]
	s_mov_b32 s14, 0xabd21fe4
	v_fma_f64 v[8:9], v[2:3], v[6:7], -v[8:9]
	s_mov_b32 s15, 0xbcb4600b
	v_add_f64 v[8:9], v[8:9], s[14:15]
	s_mov_b32 s14, 0xd908de38
	v_fma_f64 v[6:7], v[2:3], v[8:9], -v[6:7]
	s_mov_b32 s15, 0xbcb8aee7
	v_add_f64 v[6:7], v[6:7], s[14:15]
	s_mov_b32 s14, 0xa3eafb1f
	v_fma_f64 v[8:9], v[2:3], v[6:7], -v[8:9]
	s_mov_b32 s15, 0x3cdfee7d
	v_add_f64 v[8:9], v[8:9], s[14:15]
	s_mov_b32 s14, 0x9094e6d7
	v_fma_f64 v[6:7], v[2:3], v[8:9], -v[6:7]
	s_mov_b32 s15, 0x3cf12a91
	v_add_f64 v[6:7], v[6:7], s[14:15]
	s_mov_b32 s14, 0x7e65629a
	v_fma_f64 v[8:9], v[2:3], v[6:7], -v[8:9]
	s_mov_b32 s15, 0xbd0583fe
	v_add_f64 v[8:9], v[8:9], s[14:15]
	s_mov_b32 s14, 0xcf68bb32
	v_fma_f64 v[6:7], v[2:3], v[8:9], -v[6:7]
	s_mov_b32 s15, 0xbd275d99
	v_add_f64 v[6:7], v[6:7], s[14:15]
	s_mov_b32 s14, 0xd5fc545
	v_fma_f64 v[8:9], v[2:3], v[6:7], -v[8:9]
	s_mov_b32 s15, 0x3d1156ff
	v_add_f64 v[8:9], v[8:9], s[14:15]
	s_mov_b32 s14, 0x6b83c073
	v_fma_f64 v[6:7], v[2:3], v[8:9], -v[6:7]
	s_mov_b32 s15, 0x3d5b1c8c
	v_add_f64 v[6:7], v[6:7], s[14:15]
	s_mov_b32 s14, 0xfa268cec
	v_fma_f64 v[8:9], v[2:3], v[6:7], -v[8:9]
	s_mov_b32 s15, 0x3d694347
	v_add_f64 v[8:9], v[8:9], s[14:15]
	s_mov_b32 s14, 0x3178d66
	v_fma_f64 v[6:7], v[2:3], v[8:9], -v[6:7]
	s_mov_b32 s15, 0xbd7f9043
	v_add_f64 v[6:7], v[6:7], s[14:15]
	s_mov_b32 s14, 0x357e7bf2
	v_fma_f64 v[8:9], v[2:3], v[6:7], -v[8:9]
	s_mov_b32 s15, 0xbdad0fd7
	v_add_f64 v[8:9], v[8:9], s[14:15]
	s_mov_b32 s14, 0x8397425
	v_fma_f64 v[6:7], v[2:3], v[8:9], -v[6:7]
	s_mov_b32 s15, 0xbdc1511d
	v_add_f64 v[6:7], v[6:7], s[14:15]
	s_mov_b32 s14, 0xabe8004f
	v_fma_f64 v[8:9], v[2:3], v[6:7], -v[8:9]
	s_mov_b32 s15, 0x3daa24fe
	v_add_f64 v[8:9], v[8:9], s[14:15]
	s_mov_b32 s14, 0xc0f46f75
	v_fma_f64 v[6:7], v[2:3], v[8:9], -v[6:7]
	s_mov_b32 s15, 0x3e00f9cc
	v_add_f64 v[6:7], v[6:7], s[14:15]
	s_mov_b32 s14, 0xa9225b87
	v_fma_f64 v[8:9], v[2:3], v[6:7], -v[8:9]
	s_mov_b32 s15, 0x3e2d2c64
	v_add_f64 v[8:9], v[8:9], s[14:15]
	s_mov_b32 s14, 0x80d6d56d
	v_fma_f64 v[6:7], v[2:3], v[8:9], -v[6:7]
	s_mov_b32 s15, 0x3e585692
	v_add_f64 v[6:7], v[6:7], s[14:15]
	s_mov_b32 s14, 0xd9cd616e
	v_fma_f64 v[8:9], v[2:3], v[6:7], -v[8:9]
	s_mov_b32 s15, 0x3e8b8007
	v_add_f64 v[8:9], v[8:9], s[14:15]
	s_mov_b32 s14, 0xc101c586
	v_fma_f64 v[6:7], v[2:3], v[8:9], -v[6:7]
	s_mov_b32 s15, 0x3ec8412b
	v_add_f64 v[10:11], v[6:7], s[14:15]
	s_mov_b32 s14, 0x78999e52
	v_fma_f64 v[6:7], v[2:3], v[10:11], -v[8:9]
	s_mov_b32 s15, 0x3f120fa3
	v_add_f64 v[6:7], v[6:7], s[14:15]
	s_mov_b32 s14, 0xa2e59049
	v_fma_f64 v[8:9], v[2:3], v[6:7], -v[10:11]
	s_mov_b32 s15, 0x3f6b998c
	v_add_f64 v[8:9], v[8:9], s[14:15]
	s_mov_b32 s14, 0xaca809cb
	v_fma_f64 v[2:3], v[2:3], v[8:9], -v[6:7]
	s_mov_b32 s15, 0x3fe9be62
	v_add_f64 v[8:9], v[2:3], s[14:15]
	s_mov_b32 s14, 0x652b82fe
	s_mov_b32 s15, 0x3ff71547
	v_mul_f64 v[2:3], v[4:5], s[14:15]
	s_mov_b32 s14, 0xfefa39ef
	v_rndne_f64_e32 v[2:3], v[2:3]
	s_mov_b32 s15, 0xbfe62e42
	v_fma_f64 v[10:11], s[14:15], v[2:3], v[4:5]
	s_mov_b32 s14, 0x3b39803f
	s_mov_b32 s15, 0xbc7abc9e
	v_fmac_f64_e32 v[10:11], s[14:15], v[2:3]
	s_mov_b32 s14, 0x6a5dcb37
	s_mov_b32 s15, 0x3e5ade15
	v_fmac_f64_e32 v[12:13], s[14:15], v[10:11]
	v_mov_b32_e32 v15, 0x3ec71dee
	v_fmac_f64_e32 v[14:15], v[10:11], v[12:13]
	v_mov_b32_e32 v12, 0x7c89e6b0
	v_mov_b32_e32 v13, 0x3efa0199
	v_fmac_f64_e32 v[12:13], v[10:11], v[14:15]
	v_mov_b32_e32 v14, 0x14761f6e
	v_mov_b32_e32 v15, 0x3f2a01a0
	v_fmac_f64_e32 v[14:15], v[10:11], v[12:13]
	v_mov_b32_e32 v12, 0x1852b7b0
	v_mov_b32_e32 v13, 0x3f56c16c
	v_fmac_f64_e32 v[12:13], v[10:11], v[14:15]
	v_mov_b32_e32 v14, 0x11122322
	v_mov_b32_e32 v15, 0x3f811111
	v_fmac_f64_e32 v[14:15], v[10:11], v[12:13]
	v_mov_b32_e32 v12, 0x555502a1
	v_mov_b32_e32 v13, 0x3fa55555
	v_fmac_f64_e32 v[12:13], v[10:11], v[14:15]
	v_mov_b32_e32 v14, 0x55555511
	v_mov_b32_e32 v15, 0x3fc55555
	v_fmac_f64_e32 v[14:15], v[10:11], v[12:13]
	v_mov_b32_e32 v12, 11
	v_mov_b32_e32 v13, 0x3fe00000
	v_fmac_f64_e32 v[12:13], v[10:11], v[14:15]
	s_mov_b32 s14, 0
	v_fma_f64 v[12:13], v[10:11], v[12:13], 1.0
	s_mov_b32 s15, 0x40900000
	v_fma_f64 v[10:11], v[10:11], v[12:13], 1.0
	v_cvt_i32_f64_e32 v2, v[2:3]
	v_cmp_nlt_f64_e32 vcc, s[14:15], v[4:5]
	s_mov_b32 s14, 0
	v_ldexp_f64 v[2:3], v[10:11], v2
	v_mov_b32_e32 v10, 0x7ff00000
	s_brev_b32 s15, 8
	v_cndmask_b32_e32 v3, v10, v3, vcc
	v_cndmask_b32_e32 v2, 0, v2, vcc
	v_cmp_gt_f64_e32 vcc, s[14:15], v[4:5]
	v_cndmask_b32_e64 v10, 0, 1, vcc
	v_lshlrev_b32_e32 v10, 8, v10
	v_ldexp_f64 v[10:11], v[4:5], v10
	v_rsq_f64_e32 v[12:13], v[10:11]
	v_add_f64 v[6:7], v[8:9], -v[6:7]
	v_mul_f64 v[6:7], v[6:7], 0.5
	v_mul_f64 v[6:7], v[2:3], v[6:7]
	v_mul_f64 v[8:9], v[10:11], v[12:13]
	v_mul_f64 v[12:13], v[12:13], 0.5
	v_fma_f64 v[14:15], -v[12:13], v[8:9], 0.5
	v_fmac_f64_e32 v[8:9], v[8:9], v[14:15]
	v_fma_f64 v[16:17], -v[8:9], v[8:9], v[10:11]
	v_fmac_f64_e32 v[12:13], v[12:13], v[14:15]
	v_fmac_f64_e32 v[8:9], v[16:17], v[12:13]
	v_fma_f64 v[14:15], -v[8:9], v[8:9], v[10:11]
	v_fmac_f64_e32 v[8:9], v[14:15], v[12:13]
	v_mov_b32_e32 v12, 0xffffff80
	v_cndmask_b32_e32 v12, 0, v12, vcc
	v_ldexp_f64 v[8:9], v[8:9], v12
	v_mov_b32_e32 v12, 0x260
	v_cmp_class_f64_e32 vcc, v[10:11], v12
	v_cndmask_b32_e32 v9, v9, v11, vcc
	v_cndmask_b32_e32 v8, v8, v10, vcc
	v_div_scale_f64 v[10:11], s[14:15], v[8:9], v[8:9], v[6:7]
	v_rcp_f64_e32 v[12:13], v[10:11]
	v_fma_f64 v[14:15], -v[10:11], v[12:13], 1.0
	v_fmac_f64_e32 v[12:13], v[12:13], v[14:15]
	v_fma_f64 v[14:15], -v[10:11], v[12:13], 1.0
	v_fmac_f64_e32 v[12:13], v[12:13], v[14:15]
	v_div_scale_f64 v[14:15], vcc, v[6:7], v[8:9], v[6:7]
	v_mul_f64 v[16:17], v[14:15], v[12:13]
	v_fma_f64 v[10:11], -v[10:11], v[16:17], v[14:15]
	s_nop 1
	v_div_fmas_f64 v[10:11], v[10:11], v[12:13], v[16:17]
	v_div_fixup_f64 v[6:7], v[10:11], v[8:9], v[6:7]
.LBB8_58:
	s_or_b64 exec, exec, s[12:13]
	s_mov_b32 s12, 0xe6a7fd77
	v_fma_f64 v[4:5], v[4:5], v[4:5], -2.0
	v_mov_b32_e32 v8, 0xc384c2aa
	v_mov_b32_e32 v9, 0x3d27fb0a
	s_mov_b32 s13, 0x3ca3cee1
	v_fmac_f64_e32 v[8:9], s[12:13], v[4:5]
	v_mov_b32_e32 v10, 0xe6a7fd77
	v_mov_b32_e32 v11, 0xbca3cee1
	s_mov_b32 s12, 0x47512144
	v_fmac_f64_e32 v[10:11], v[4:5], v[8:9]
	s_mov_b32 s13, 0x3da6c25c
	v_add_f64 v[10:11], v[10:11], s[12:13]
	s_mov_b32 s12, 0x67e58a13
	v_fma_f64 v[8:9], v[4:5], v[10:11], -v[8:9]
	s_mov_b32 s13, 0x3e205c13
	v_add_f64 v[8:9], v[8:9], s[12:13]
	s_mov_b32 s12, 0xe7f95efc
	v_fma_f64 v[10:11], v[4:5], v[8:9], -v[10:11]
	s_mov_b32 s13, 0x3e9102bc
	v_add_f64 v[10:11], v[10:11], s[12:13]
	s_mov_b32 s12, 0xfe8cfca0
	v_fma_f64 v[8:9], v[4:5], v[10:11], -v[8:9]
	s_mov_b32 s13, 0x3ef7f900
	v_add_f64 v[8:9], v[8:9], s[12:13]
	s_mov_b32 s12, 0x75633d73
	v_fma_f64 v[10:11], v[4:5], v[8:9], -v[10:11]
	s_mov_b32 s13, 0x3f54b82e
	v_add_f64 v[10:11], v[10:11], s[12:13]
	s_mov_b32 s12, 0x554a9085
	v_fma_f64 v[8:9], v[4:5], v[10:11], -v[8:9]
	s_mov_b32 s13, 0x3fa26bf6
	v_add_f64 v[8:9], v[8:9], s[12:13]
	s_mov_b32 s12, 0x81213db9
	v_fma_f64 v[10:11], v[4:5], v[8:9], -v[10:11]
	s_mov_b32 s13, 0x3fd608d8
	v_add_f64 v[10:11], v[10:11], s[12:13]
	s_mov_b32 s12, 0xe9d2f61f
	v_fma_f64 v[4:5], v[4:5], v[10:11], -v[8:9]
	s_mov_b32 s13, 0xbfe12166
	v_add_f64 v[4:5], v[4:5], s[12:13]
	s_mov_b32 s12, 0x55555555
	v_add_f64 v[4:5], v[4:5], -v[8:9]
	v_frexp_mant_f64_e32 v[8:9], v[0:1]
	s_mov_b32 s13, 0x3fe55555
	v_mov_b32_e32 v10, 0x3ff00000
	v_cmp_gt_f64_e32 vcc, s[12:13], v[8:9]
	v_cndmask_b32_e64 v11, v10, 2.0, vcc
	v_mov_b32_e32 v10, 0
	v_mul_f64 v[8:9], v[8:9], v[10:11]
	v_frexp_exp_i32_f64_e32 v12, v[0:1]
	v_add_f64 v[10:11], v[8:9], 1.0
	v_subbrev_co_u32_e32 v22, vcc, 0, v12, vcc
	v_rcp_f64_e32 v[12:13], v[10:11]
	v_add_f64 v[16:17], v[10:11], -1.0
	v_add_f64 v[14:15], v[8:9], -1.0
	v_add_f64 v[8:9], v[8:9], -v[16:17]
	v_fma_f64 v[16:17], -v[10:11], v[12:13], 1.0
	v_fmac_f64_e32 v[12:13], v[16:17], v[12:13]
	v_fma_f64 v[16:17], -v[10:11], v[12:13], 1.0
	v_fmac_f64_e32 v[12:13], v[16:17], v[12:13]
	v_mul_f64 v[16:17], v[14:15], v[12:13]
	v_mul_f64 v[18:19], v[10:11], v[16:17]
	v_fma_f64 v[10:11], v[16:17], v[10:11], -v[18:19]
	v_fmac_f64_e32 v[10:11], v[16:17], v[8:9]
	v_add_f64 v[8:9], v[18:19], v[10:11]
	v_add_f64 v[20:21], v[14:15], -v[8:9]
	v_add_f64 v[18:19], v[8:9], -v[18:19]
	;; [unrolled: 1-line block ×5, first 2 shown]
	v_add_f64 v[8:9], v[10:11], v[8:9]
	v_add_f64 v[8:9], v[20:21], v[8:9]
	v_mul_f64 v[8:9], v[12:13], v[8:9]
	v_add_f64 v[10:11], v[16:17], v[8:9]
	v_add_f64 v[12:13], v[10:11], -v[16:17]
	s_mov_b32 s12, 0xbf559e2b
	v_add_f64 v[8:9], v[8:9], -v[12:13]
	v_mul_f64 v[12:13], v[10:11], v[10:11]
	v_mov_b32_e32 v14, 0x6b47b09a
	v_mov_b32_e32 v15, 0x3fc38538
	s_mov_b32 s13, 0x3fc3ab76
	v_fmac_f64_e32 v[14:15], s[12:13], v[12:13]
	v_mov_b32_e32 v16, 0xd7f4df2e
	v_mov_b32_e32 v17, 0x3fc7474d
	v_fmac_f64_e32 v[16:17], v[12:13], v[14:15]
	v_mov_b32_e32 v14, 0x16291751
	v_mov_b32_e32 v15, 0x3fcc71c0
	;; [unrolled: 3-line block ×5, first 2 shown]
	v_fmac_f64_e32 v[16:17], v[12:13], v[14:15]
	v_ldexp_f64 v[14:15], v[10:11], 1
	v_mul_f64 v[10:11], v[10:11], v[12:13]
	v_mul_f64 v[10:11], v[10:11], v[16:17]
	v_add_f64 v[12:13], v[14:15], v[10:11]
	v_add_f64 v[14:15], v[12:13], -v[14:15]
	v_ldexp_f64 v[8:9], v[8:9], 1
	v_add_f64 v[10:11], v[10:11], -v[14:15]
	v_add_f64 v[8:9], v[8:9], v[10:11]
	v_add_f64 v[10:11], v[12:13], v[8:9]
	v_add_f64 v[12:13], v[10:11], -v[12:13]
	s_mov_b32 s12, 0xfefa39ef
	v_add_f64 v[8:9], v[8:9], -v[12:13]
	v_cvt_f64_i32_e32 v[12:13], v22
	s_mov_b32 s13, 0x3fe62e42
	v_mul_f64 v[14:15], v[12:13], s[12:13]
	v_fma_f64 v[16:17], v[12:13], s[12:13], -v[14:15]
	s_mov_b32 s12, 0x3b39803f
	s_mov_b32 s13, 0x3c7abc9e
	v_fmac_f64_e32 v[16:17], s[12:13], v[12:13]
	v_add_f64 v[12:13], v[14:15], v[16:17]
	v_add_f64 v[14:15], v[12:13], -v[14:15]
	v_add_f64 v[14:15], v[16:17], -v[14:15]
	v_add_f64 v[16:17], v[12:13], v[10:11]
	v_add_f64 v[18:19], v[16:17], -v[12:13]
	v_add_f64 v[20:21], v[16:17], -v[18:19]
	;; [unrolled: 1-line block ×4, first 2 shown]
	v_add_f64 v[10:11], v[10:11], v[12:13]
	v_add_f64 v[12:13], v[14:15], v[8:9]
	v_add_f64 v[18:19], v[12:13], -v[14:15]
	v_add_f64 v[20:21], v[12:13], -v[18:19]
	v_add_f64 v[10:11], v[12:13], v[10:11]
	v_add_f64 v[14:15], v[14:15], -v[20:21]
	v_add_f64 v[8:9], v[8:9], -v[18:19]
	v_add_f64 v[12:13], v[16:17], v[10:11]
	v_add_f64 v[8:9], v[8:9], v[14:15]
	v_add_f64 v[14:15], v[12:13], -v[16:17]
	v_add_f64 v[10:11], v[10:11], -v[14:15]
	s_mov_b32 s12, 0
	v_add_f64 v[8:9], v[8:9], v[10:11]
	s_mov_b32 s13, 0x7ff00000
	v_add_f64 v[8:9], v[12:13], v[8:9]
	v_cmp_eq_f64_e32 vcc, s[12:13], v[0:1]
	v_cndmask_b32_e32 v8, v8, v0, vcc
	v_cndmask_b32_e32 v9, v9, v1, vcc
	v_mov_b32_e32 v10, 0xfff00000
	v_cmp_neq_f64_e32 vcc, 0, v[0:1]
	v_cndmask_b32_e32 v1, v10, v9, vcc
	v_cndmask_b32_e32 v0, 0, v8, vcc
	v_mul_f64 v[0:1], v[0:1], v[6:7]
	v_fma_f64 v[0:1], v[4:5], 0.5, -v[0:1]
	v_mul_f64 v[0:1], v[2:3], v[0:1]
                                        ; implicit-def: $vgpr4_vgpr5
.LBB8_59:
	s_andn2_saveexec_b64 s[10:11], s[10:11]
	s_cbranch_execz .LBB8_61
; %bb.60:
	s_mov_b32 s12, 0
	s_mov_b32 s13, 0x40200000
	v_div_scale_f64 v[0:1], s[14:15], v[4:5], v[4:5], s[12:13]
	v_rcp_f64_e32 v[2:3], v[0:1]
	s_mov_b32 s14, 0
	s_brev_b32 s15, 8
	v_fma_f64 v[6:7], -v[0:1], v[2:3], 1.0
	v_fmac_f64_e32 v[2:3], v[2:3], v[6:7]
	v_fma_f64 v[6:7], -v[0:1], v[2:3], 1.0
	v_fmac_f64_e32 v[2:3], v[2:3], v[6:7]
	v_div_scale_f64 v[6:7], vcc, s[12:13], v[4:5], s[12:13]
	v_mul_f64 v[8:9], v[6:7], v[2:3]
	v_fma_f64 v[0:1], -v[0:1], v[8:9], v[6:7]
	v_mov_b32_e32 v6, 0xcf8c9ee1
	s_nop 0
	v_div_fmas_f64 v[0:1], v[0:1], v[2:3], v[8:9]
	v_div_fixup_f64 v[0:1], v[0:1], v[4:5], s[12:13]
	s_mov_b32 s12, 0xcf8c9ee1
	v_add_f64 v[0:1], v[0:1], -2.0
	v_mov_b32_e32 v2, 0x93812603
	v_mov_b32_e32 v3, 0xbc72fecc
	s_mov_b32 s13, 0x3c5871a5
	v_fmac_f64_e32 v[2:3], s[12:13], v[0:1]
	v_mov_b32_e32 v7, 0xbc5871a5
	s_mov_b32 s12, 0x41a8cdf4
	v_fmac_f64_e32 v[6:7], v[0:1], v[2:3]
	s_mov_b32 s13, 0x3c8e092e
	v_add_f64 v[6:7], v[6:7], s[12:13]
	s_mov_b32 s12, 0x74d77641
	v_fma_f64 v[2:3], v[0:1], v[6:7], -v[2:3]
	s_mov_b32 s13, 0xbca82f94
	v_add_f64 v[2:3], v[2:3], s[12:13]
	s_mov_b32 s12, 0x6b94785b
	v_fma_f64 v[6:7], v[0:1], v[2:3], -v[6:7]
	;; [unrolled: 4-line block ×21, first 2 shown]
	s_mov_b32 s13, 0xbfa019f7
	v_add_f64 v[2:3], v[2:3], s[12:13]
	v_cmp_gt_f64_e32 vcc, s[14:15], v[4:5]
	v_fma_f64 v[0:1], v[0:1], v[2:3], -v[6:7]
	v_cndmask_b32_e64 v2, 0, 1, vcc
	v_lshlrev_b32_e32 v2, 8, v2
	v_ldexp_f64 v[2:3], v[4:5], v2
	v_rsq_f64_e32 v[4:5], v[2:3]
	s_mov_b32 s12, 0x9f4e6907
	s_mov_b32 s13, 0x400385bd
	v_add_f64 v[0:1], v[0:1], s[12:13]
	v_add_f64 v[0:1], v[0:1], -v[6:7]
	v_mul_f64 v[6:7], v[2:3], v[4:5]
	v_mul_f64 v[4:5], v[4:5], 0.5
	v_fma_f64 v[8:9], -v[4:5], v[6:7], 0.5
	v_fmac_f64_e32 v[6:7], v[6:7], v[8:9]
	v_fma_f64 v[10:11], -v[6:7], v[6:7], v[2:3]
	v_fmac_f64_e32 v[4:5], v[4:5], v[8:9]
	v_fmac_f64_e32 v[6:7], v[10:11], v[4:5]
	v_fma_f64 v[8:9], -v[6:7], v[6:7], v[2:3]
	v_fmac_f64_e32 v[6:7], v[8:9], v[4:5]
	v_mov_b32_e32 v4, 0xffffff80
	v_cndmask_b32_e32 v4, 0, v4, vcc
	v_ldexp_f64 v[4:5], v[6:7], v4
	v_mov_b32_e32 v6, 0x260
	v_cmp_class_f64_e32 vcc, v[2:3], v6
	v_mul_f64 v[0:1], v[0:1], 0.5
	v_cndmask_b32_e32 v3, v5, v3, vcc
	v_cndmask_b32_e32 v2, v4, v2, vcc
	v_div_scale_f64 v[4:5], s[12:13], v[2:3], v[2:3], v[0:1]
	v_rcp_f64_e32 v[6:7], v[4:5]
	v_fma_f64 v[8:9], -v[4:5], v[6:7], 1.0
	v_fmac_f64_e32 v[6:7], v[6:7], v[8:9]
	v_fma_f64 v[8:9], -v[4:5], v[6:7], 1.0
	v_fmac_f64_e32 v[6:7], v[6:7], v[8:9]
	v_div_scale_f64 v[8:9], vcc, v[0:1], v[2:3], v[0:1]
	v_mul_f64 v[10:11], v[8:9], v[6:7]
	v_fma_f64 v[4:5], -v[4:5], v[10:11], v[8:9]
	s_nop 1
	v_div_fmas_f64 v[4:5], v[4:5], v[6:7], v[10:11]
	v_div_fixup_f64 v[0:1], v[4:5], v[2:3], v[0:1]
.LBB8_61:
	s_or_b64 exec, exec, s[10:11]
.LBB8_62:
	s_or_b64 exec, exec, s[8:9]
.LBB8_63:
	s_or_b64 exec, exec, s[6:7]
	s_or_b64 exec, exec, s[4:5]
	s_setpc_b64 s[30:31]
.LBB8_64:
	v_mov_b32_e32 v2, 28
	v_cmp_gt_i16_sdwa s[8:9], v3, v2 src0_sel:BYTE_0 src1_sel:DWORD
	s_mov_b64 s[14:15], 0
                                        ; implicit-def: $vgpr4_vgpr5
	s_and_saveexec_b64 s[16:17], s[8:9]
	s_xor_b64 s[8:9], exec, s[16:17]
	s_cbranch_execz .LBB8_80
; %bb.65:
	v_mov_b32_e32 v2, 43
	v_cmp_gt_i16_sdwa s[12:13], v3, v2 src0_sel:BYTE_0 src1_sel:DWORD
	s_mov_b64 s[16:17], 0
	s_mov_b64 s[18:19], 0
                                        ; implicit-def: $vgpr4_vgpr5
	s_and_saveexec_b64 s[14:15], s[12:13]
	s_xor_b64 s[12:13], exec, s[14:15]
	s_cbranch_execz .LBB8_75
; %bb.66:
	v_mov_b32_e32 v2, 45
	v_cmp_gt_i16_sdwa s[18:19], v3, v2 src0_sel:BYTE_0 src1_sel:DWORD
	s_mov_b64 s[14:15], 0
                                        ; implicit-def: $vgpr4_vgpr5
	s_and_saveexec_b64 s[20:21], s[18:19]
	s_xor_b64 s[18:19], exec, s[20:21]
	s_cbranch_execz .LBB8_70
; %bb.67:
	v_mov_b32_e32 v2, 46
	v_cmp_eq_u16_sdwa s[22:23], v3, v2 src0_sel:BYTE_0 src1_sel:DWORD
	s_mov_b64 s[20:21], -1
                                        ; implicit-def: $vgpr4_vgpr5
	s_and_saveexec_b64 s[16:17], s[22:23]
	s_cbranch_execz .LBB8_69
; %bb.68:
	flat_load_dword v2, v[0:1]
	s_mov_b64 s[14:15], exec
	s_xor_b64 s[20:21], exec, -1
	s_waitcnt vmcnt(0) lgkmcnt(0)
	v_lshlrev_b32_e32 v2, 16, v2
	v_cvt_f64_f32_e32 v[4:5], v2
.LBB8_69:
	s_or_b64 exec, exec, s[16:17]
	s_and_b64 s[16:17], s[14:15], exec
	s_and_b64 s[14:15], s[20:21], exec
                                        ; implicit-def: $vgpr3
.LBB8_70:
	s_andn2_saveexec_b64 s[18:19], s[18:19]
	s_cbranch_execz .LBB8_74
; %bb.71:
	v_mov_b32_e32 v2, 44
	v_cmp_eq_u16_sdwa s[26:27], v3, v2 src0_sel:BYTE_0 src1_sel:DWORD
	s_mov_b64 s[24:25], -1
	s_mov_b64 s[22:23], s[16:17]
                                        ; implicit-def: $vgpr4_vgpr5
	s_and_saveexec_b64 s[20:21], s[26:27]
	s_cbranch_execz .LBB8_73
; %bb.72:
	flat_load_ubyte v4, v[0:1]
	s_movk_i32 s24, 0xff
	v_bfrev_b32_e32 v5, 4
	v_mov_b32_e32 v6, 0x7ff80000
	v_bfrev_b32_e32 v7, 28
	s_or_b64 s[22:23], s[16:17], exec
	s_waitcnt vmcnt(0) lgkmcnt(0)
	v_lshlrev_b32_e32 v2, 23, v4
	v_cvt_f64_f32_e32 v[2:3], v2
	v_cmp_ne_u32_e32 vcc, s24, v4
	v_cndmask_b32_e32 v2, v5, v2, vcc
	v_cndmask_b32_e32 v3, v6, v3, vcc
	v_cmp_ne_u32_e32 vcc, 0, v4
	v_cndmask_b32_e32 v5, v7, v3, vcc
	v_cndmask_b32_e32 v4, 0, v2, vcc
	s_xor_b64 s[24:25], exec, -1
.LBB8_73:
	s_or_b64 exec, exec, s[20:21]
	s_andn2_b64 s[16:17], s[16:17], exec
	s_and_b64 s[20:21], s[22:23], exec
	s_or_b64 s[16:17], s[16:17], s[20:21]
	s_andn2_b64 s[14:15], s[14:15], exec
	s_and_b64 s[20:21], s[24:25], exec
	s_or_b64 s[14:15], s[14:15], s[20:21]
.LBB8_74:
	s_or_b64 exec, exec, s[18:19]
	s_and_b64 s[18:19], s[16:17], exec
	s_and_b64 s[16:17], s[14:15], exec
                                        ; implicit-def: $vgpr3
.LBB8_75:
	s_andn2_saveexec_b64 s[12:13], s[12:13]
	s_cbranch_execz .LBB8_79
; %bb.76:
	v_mov_b32_e32 v2, 29
	v_cmp_eq_u16_sdwa s[24:25], v3, v2 src0_sel:BYTE_0 src1_sel:DWORD
	s_mov_b64 s[14:15], -1
	s_mov_b64 s[20:21], s[18:19]
                                        ; implicit-def: $vgpr4_vgpr5
	s_and_saveexec_b64 s[22:23], s[24:25]
	s_cbranch_execz .LBB8_78
; %bb.77:
	flat_load_dwordx2 v[2:3], v[0:1]
	s_or_b64 s[20:21], s[18:19], exec
	s_xor_b64 s[14:15], exec, -1
	s_waitcnt vmcnt(0) lgkmcnt(0)
	v_cvt_f64_u32_e32 v[4:5], v3
	v_cvt_f64_u32_e32 v[2:3], v2
	v_ldexp_f64 v[4:5], v[4:5], 32
	v_add_f64 v[4:5], v[4:5], v[2:3]
.LBB8_78:
	s_or_b64 exec, exec, s[22:23]
	s_andn2_b64 s[18:19], s[18:19], exec
	s_and_b64 s[20:21], s[20:21], exec
	s_andn2_b64 s[16:17], s[16:17], exec
	s_and_b64 s[14:15], s[14:15], exec
	s_or_b64 s[18:19], s[18:19], s[20:21]
	s_or_b64 s[16:17], s[16:17], s[14:15]
.LBB8_79:
	s_or_b64 exec, exec, s[12:13]
	s_and_b64 s[14:15], s[18:19], exec
	s_and_b64 s[12:13], s[16:17], exec
                                        ; implicit-def: $vgpr3
.LBB8_80:
	s_andn2_saveexec_b64 s[8:9], s[8:9]
	s_cbranch_execz .LBB8_94
; %bb.81:
	v_mov_b32_e32 v2, 26
	v_cmp_gt_i16_sdwa s[16:17], v3, v2 src0_sel:BYTE_0 src1_sel:DWORD
                                        ; implicit-def: $vgpr4_vgpr5
	s_and_saveexec_b64 s[18:19], s[16:17]
	s_xor_b64 s[16:17], exec, s[18:19]
	s_cbranch_execz .LBB8_87
; %bb.82:
	v_mov_b32_e32 v2, 27
	v_cmp_gt_i16_sdwa s[18:19], v3, v2 src0_sel:BYTE_0 src1_sel:DWORD
                                        ; implicit-def: $vgpr4_vgpr5
	s_and_saveexec_b64 s[20:21], s[18:19]
	s_xor_b64 s[18:19], exec, s[20:21]
	s_cbranch_execz .LBB8_84
; %bb.83:
	flat_load_dword v2, v[0:1]
	s_waitcnt vmcnt(0) lgkmcnt(0)
	v_cvt_f64_u32_e32 v[4:5], v2
.LBB8_84:
	s_andn2_saveexec_b64 s[18:19], s[18:19]
	s_cbranch_execz .LBB8_86
; %bb.85:
	flat_load_ushort v2, v[0:1]
	s_waitcnt vmcnt(0) lgkmcnt(0)
	v_cvt_f64_u32_e32 v[4:5], v2
.LBB8_86:
	s_or_b64 exec, exec, s[18:19]
.LBB8_87:
	s_andn2_saveexec_b64 s[16:17], s[16:17]
	s_cbranch_execz .LBB8_93
; %bb.88:
	flat_load_ubyte v2, v[0:1]
	s_movk_i32 s18, 0x7f
                                        ; implicit-def: $sgpr20_sgpr21
	s_waitcnt vmcnt(0) lgkmcnt(0)
	v_cmp_lt_i16_e32 vcc, s18, v2
	s_mov_b64 s[18:19], 0
	s_and_saveexec_b64 s[22:23], vcc
	s_xor_b64 s[22:23], exec, s[22:23]
	s_cbranch_execnz .LBB8_119
; %bb.89:
	s_or_saveexec_b64 s[22:23], s[22:23]
	v_pk_mov_b32 v[4:5], s[20:21], s[20:21] op_sel:[0,1]
	s_xor_b64 exec, exec, s[22:23]
	s_cbranch_execnz .LBB8_122
.LBB8_90:
	s_or_b64 exec, exec, s[22:23]
	s_and_saveexec_b64 s[20:21], s[18:19]
	s_cbranch_execz .LBB8_92
.LBB8_91:
	v_lshlrev_b32_e32 v3, 24, v2
	v_and_b32_e32 v2, 0xffff, v2
	v_and_b32_e32 v4, 7, v2
	v_ffbh_u32_e32 v6, v4
	v_min_u32_e32 v6, 32, v6
	v_subrev_u32_e32 v7, 28, v6
	v_bfe_u32 v5, v2, 3, 4
	v_lshlrev_b32_e32 v2, v7, v2
	v_sub_u32_e32 v6, 29, v6
	v_and_b32_e32 v2, 7, v2
	v_cmp_eq_u32_e32 vcc, 0, v5
	v_cndmask_b32_e32 v5, v5, v6, vcc
	v_cndmask_b32_e32 v2, v4, v2, vcc
	v_mov_b32_e32 v4, 0x3b800000
	v_lshlrev_b32_e32 v2, 20, v2
	v_and_b32_e32 v3, 0x80000000, v3
	v_lshl_add_u32 v4, v5, 23, v4
	v_or3_b32 v2, v3, v4, v2
	v_cvt_f64_f32_e32 v[4:5], v2
.LBB8_92:
	s_or_b64 exec, exec, s[20:21]
.LBB8_93:
	s_or_b64 exec, exec, s[16:17]
	s_or_b64 s[14:15], s[14:15], exec
.LBB8_94:
	s_or_b64 exec, exec, s[8:9]
	s_and_b64 s[8:9], s[14:15], exec
	s_and_b64 s[12:13], s[12:13], exec
                                        ; implicit-def: $vgpr3
	s_andn2_saveexec_b64 s[10:11], s[10:11]
	s_cbranch_execz .LBB8_6
.LBB8_95:
	v_mov_b32_e32 v2, 22
	v_cmp_gt_i16_sdwa s[6:7], v3, v2 src0_sel:BYTE_0 src1_sel:DWORD
	s_mov_b64 s[14:15], s[8:9]
                                        ; implicit-def: $vgpr4_vgpr5
	s_and_saveexec_b64 s[16:17], s[6:7]
	s_xor_b64 s[6:7], exec, s[16:17]
	s_cbranch_execz .LBB8_109
; %bb.96:
	v_mov_b32_e32 v2, 23
	v_cmp_gt_i16_sdwa s[14:15], v3, v2 src0_sel:BYTE_0 src1_sel:DWORD
                                        ; implicit-def: $vgpr4_vgpr5
	s_and_saveexec_b64 s[16:17], s[14:15]
	s_xor_b64 s[14:15], exec, s[16:17]
	s_cbranch_execz .LBB8_106
; %bb.97:
	v_mov_b32_e32 v2, 24
	v_cmp_gt_i16_sdwa s[16:17], v3, v2 src0_sel:BYTE_0 src1_sel:DWORD
                                        ; implicit-def: $vgpr4_vgpr5
	s_and_saveexec_b64 s[18:19], s[16:17]
	s_xor_b64 s[16:17], exec, s[18:19]
	s_cbranch_execz .LBB8_103
; %bb.98:
	flat_load_ubyte v2, v[0:1]
	s_movk_i32 s18, 0x7f
                                        ; implicit-def: $sgpr20_sgpr21
	s_waitcnt vmcnt(0) lgkmcnt(0)
	v_cmp_lt_i16_e32 vcc, s18, v2
	s_mov_b64 s[18:19], 0
	s_and_saveexec_b64 s[22:23], vcc
	s_xor_b64 s[22:23], exec, s[22:23]
	s_cbranch_execnz .LBB8_123
; %bb.99:
	s_or_saveexec_b64 s[22:23], s[22:23]
	v_pk_mov_b32 v[4:5], s[20:21], s[20:21] op_sel:[0,1]
	s_xor_b64 exec, exec, s[22:23]
	s_cbranch_execnz .LBB8_126
.LBB8_100:
	s_or_b64 exec, exec, s[22:23]
	s_and_saveexec_b64 s[20:21], s[18:19]
	s_cbranch_execz .LBB8_102
.LBB8_101:
	v_lshlrev_b32_e32 v3, 24, v2
	v_and_b32_e32 v2, 0xffff, v2
	v_and_b32_e32 v4, 3, v2
	v_ffbh_u32_e32 v6, v4
	v_min_u32_e32 v6, 32, v6
	v_subrev_u32_e32 v7, 29, v6
	v_bfe_u32 v5, v2, 2, 5
	v_lshlrev_b32_e32 v2, v7, v2
	v_sub_u32_e32 v6, 30, v6
	v_and_b32_e32 v2, 3, v2
	v_cmp_eq_u32_e32 vcc, 0, v5
	v_cndmask_b32_e32 v5, v5, v6, vcc
	v_cndmask_b32_e32 v2, v4, v2, vcc
	v_mov_b32_e32 v4, 0x37800000
	v_lshlrev_b32_e32 v2, 21, v2
	v_and_b32_e32 v3, 0x80000000, v3
	v_lshl_add_u32 v4, v5, 23, v4
	v_or3_b32 v2, v3, v4, v2
	v_cvt_f64_f32_e32 v[4:5], v2
.LBB8_102:
	s_or_b64 exec, exec, s[20:21]
.LBB8_103:
	s_andn2_saveexec_b64 s[16:17], s[16:17]
	s_cbranch_execz .LBB8_105
; %bb.104:
	flat_load_ubyte v2, v[0:1]
	s_mov_b32 s18, 0x7f800000
	s_waitcnt vmcnt(0) lgkmcnt(0)
	v_lshlrev_b32_e32 v2, 24, v2
	v_and_b32_e32 v3, 0x7f000000, v2
	v_ffbh_u32_e32 v4, v3
	v_min_u32_e32 v4, 32, v4
	v_sub_u32_e64 v4, v4, 4 clamp
	v_lshlrev_b32_e32 v6, v4, v3
	v_lshlrev_b32_e32 v4, 23, v4
	v_lshrrev_b32_e32 v6, 4, v6
	v_add_u32_e32 v5, 0x1000000, v3
	v_sub_u32_e32 v4, v6, v4
	v_ashrrev_i32_e32 v5, 8, v5
	v_add_u32_e32 v4, 0x3c000000, v4
	v_and_or_b32 v4, v5, s18, v4
	v_cmp_ne_u32_e32 vcc, 0, v3
	v_cndmask_b32_e32 v3, 0, v4, vcc
	s_brev_b32 s18, 1
	v_and_or_b32 v2, v2, s18, v3
	v_cvt_f64_f32_e32 v[4:5], v2
.LBB8_105:
	s_or_b64 exec, exec, s[16:17]
.LBB8_106:
	s_andn2_saveexec_b64 s[14:15], s[14:15]
	s_cbranch_execz .LBB8_108
; %bb.107:
	flat_load_ubyte v2, v[0:1]
	s_movk_i32 s16, 0x7f00
	s_brev_b32 s17, 16
	s_waitcnt vmcnt(0) lgkmcnt(0)
	v_lshlrev_b16_e32 v3, 8, v2
	v_lshlrev_b32_e32 v2, 25, v2
	v_lshrrev_b32_e32 v4, 4, v2
	v_and_or_b32 v5, v3, s16, 0.5
	v_or_b32_e32 v4, 0x70000000, v4
	v_add_f32_e32 v5, -0.5, v5
	v_mul_f32_e32 v4, 0x7800000, v4
	v_cmp_gt_u32_e32 vcc, s17, v2
	v_bfe_i32 v3, v3, 0, 16
	v_cndmask_b32_e32 v2, v4, v5, vcc
	s_brev_b32 s16, 1
	v_and_or_b32 v2, v3, s16, v2
	v_cvt_f64_f32_e32 v[4:5], v2
.LBB8_108:
	s_or_b64 exec, exec, s[14:15]
	s_or_b64 s[14:15], s[8:9], exec
                                        ; implicit-def: $vgpr3
.LBB8_109:
	s_or_saveexec_b64 s[6:7], s[6:7]
	s_mov_b64 s[18:19], 0
	s_mov_b64 s[16:17], s[12:13]
	s_xor_b64 exec, exec, s[6:7]
	s_cbranch_execz .LBB8_117
; %bb.110:
	v_mov_b32_e32 v2, 14
	v_cmp_gt_i16_sdwa s[20:21], v3, v2 src0_sel:BYTE_0 src1_sel:DWORD
	s_mov_b64 s[16:17], s[12:13]
	s_mov_b64 s[18:19], s[14:15]
                                        ; implicit-def: $vgpr4_vgpr5
	s_and_saveexec_b64 s[22:23], s[20:21]
	s_xor_b64 s[20:21], exec, s[22:23]
	s_cbranch_execz .LBB8_114
; %bb.111:
	v_mov_b32_e32 v2, 15
	v_cmp_eq_u16_sdwa s[24:25], v3, v2 src0_sel:BYTE_0 src1_sel:DWORD
	s_mov_b64 s[16:17], -1
	s_mov_b64 s[18:19], s[14:15]
                                        ; implicit-def: $vgpr4_vgpr5
	s_and_saveexec_b64 s[22:23], s[24:25]
	s_cbranch_execz .LBB8_113
; %bb.112:
	flat_load_ushort v2, v[0:1]
	s_or_b64 s[18:19], s[14:15], exec
	s_xor_b64 s[16:17], exec, -1
	s_waitcnt vmcnt(0) lgkmcnt(0)
	v_lshlrev_b32_e32 v2, 16, v2
	v_cvt_f64_f32_e32 v[4:5], v2
.LBB8_113:
	s_or_b64 exec, exec, s[22:23]
	s_andn2_b64 s[22:23], s[14:15], exec
	s_and_b64 s[18:19], s[18:19], exec
	s_or_b64 s[18:19], s[22:23], s[18:19]
	s_andn2_b64 s[22:23], s[12:13], exec
	s_and_b64 s[16:17], s[16:17], exec
	s_or_b64 s[16:17], s[22:23], s[16:17]
                                        ; implicit-def: $vgpr3
.LBB8_114:
	s_or_saveexec_b64 s[20:21], s[20:21]
	s_mov_b64 s[22:23], 0
	s_xor_b64 exec, exec, s[20:21]
; %bb.115:
	v_mov_b32_e32 v2, 11
	v_cmp_ne_u16_sdwa s[24:25], v3, v2 src0_sel:BYTE_0 src1_sel:DWORD
	s_andn2_b64 s[16:17], s[16:17], exec
	s_and_b64 s[24:25], s[24:25], exec
	s_mov_b64 s[22:23], exec
	s_or_b64 s[16:17], s[16:17], s[24:25]
                                        ; implicit-def: $vgpr4_vgpr5
; %bb.116:
	s_or_b64 exec, exec, s[20:21]
	s_andn2_b64 s[14:15], s[14:15], exec
	s_and_b64 s[18:19], s[18:19], exec
	s_andn2_b64 s[20:21], s[12:13], exec
	s_and_b64 s[16:17], s[16:17], exec
	s_or_b64 s[14:15], s[14:15], s[18:19]
	s_and_b64 s[18:19], s[22:23], exec
	s_or_b64 s[16:17], s[20:21], s[16:17]
.LBB8_117:
	s_or_b64 exec, exec, s[6:7]
	s_andn2_b64 s[6:7], s[8:9], exec
	s_and_b64 s[8:9], s[14:15], exec
	s_andn2_b64 s[12:13], s[12:13], exec
	s_and_b64 s[14:15], s[16:17], exec
	s_or_b64 s[8:9], s[6:7], s[8:9]
	s_and_b64 s[6:7], s[18:19], exec
	s_or_b64 s[12:13], s[12:13], s[14:15]
	s_or_b64 exec, exec, s[10:11]
	s_and_saveexec_b64 s[10:11], s[12:13]
	s_cbranch_execz .LBB8_7
.LBB8_118:
	s_trap 2
	; divergent unreachable
	s_andn2_b64 s[6:7], s[6:7], exec
                                        ; implicit-def: $vgpr4_vgpr5
	s_or_b64 exec, exec, s[10:11]
	s_and_saveexec_b64 s[10:11], s[6:7]
	s_xor_b64 s[6:7], exec, s[10:11]
	s_cbranch_execnz .LBB8_8
	s_branch .LBB8_9
.LBB8_119:
	s_movk_i32 s18, 0x80
	v_cmp_eq_u16_e32 vcc, s18, v2
	s_mov_b64 s[24:25], -1
                                        ; implicit-def: $sgpr20_sgpr21
	s_and_saveexec_b64 s[18:19], vcc
; %bb.120:
	s_mov_b32 s21, 0x7ff80000
	s_brev_b32 s20, 4
	s_xor_b64 s[24:25], exec, -1
; %bb.121:
	s_or_b64 exec, exec, s[18:19]
	s_and_b64 s[18:19], s[24:25], exec
	s_or_saveexec_b64 s[22:23], s[22:23]
	v_pk_mov_b32 v[4:5], s[20:21], s[20:21] op_sel:[0,1]
	s_xor_b64 exec, exec, s[22:23]
	s_cbranch_execz .LBB8_90
.LBB8_122:
	v_cmp_ne_u16_e32 vcc, 0, v2
	s_andn2_b64 s[18:19], s[18:19], exec
	s_and_b64 s[20:21], vcc, exec
	v_pk_mov_b32 v[4:5], 0, 0
	s_or_b64 s[18:19], s[18:19], s[20:21]
	s_or_b64 exec, exec, s[22:23]
	s_and_saveexec_b64 s[20:21], s[18:19]
	s_cbranch_execnz .LBB8_91
	s_branch .LBB8_92
.LBB8_123:
	s_movk_i32 s18, 0x80
	v_cmp_eq_u16_e32 vcc, s18, v2
	s_mov_b64 s[24:25], -1
                                        ; implicit-def: $sgpr20_sgpr21
	s_and_saveexec_b64 s[18:19], vcc
; %bb.124:
	s_mov_b32 s21, 0x7ff80000
	s_brev_b32 s20, 4
	s_xor_b64 s[24:25], exec, -1
; %bb.125:
	s_or_b64 exec, exec, s[18:19]
	s_and_b64 s[18:19], s[24:25], exec
	s_or_saveexec_b64 s[22:23], s[22:23]
	v_pk_mov_b32 v[4:5], s[20:21], s[20:21] op_sel:[0,1]
	s_xor_b64 exec, exec, s[22:23]
	s_cbranch_execz .LBB8_100
.LBB8_126:
	v_cmp_ne_u16_e32 vcc, 0, v2
	s_andn2_b64 s[18:19], s[18:19], exec
	s_and_b64 s[20:21], vcc, exec
	v_pk_mov_b32 v[4:5], 0, 0
	s_or_b64 s[18:19], s[18:19], s[20:21]
	s_or_b64 exec, exec, s[22:23]
	s_and_saveexec_b64 s[20:21], s[18:19]
	s_cbranch_execnz .LBB8_101
	s_branch .LBB8_102
.Lfunc_end8:
	.size	_ZN2at6native6invokeIZZZNS0_12_GLOBAL__N_137scaled_modified_bessel_k0_kernel_cudaERNS_18TensorIteratorBaseEENKUlvE_clEvENKUlvE_clEvEUldE_i15function_traitsIS7_EEENT1_11result_typeERKT_PrKPcPKT0_PKN3c1010ScalarTypeEi, .Lfunc_end8-_ZN2at6native6invokeIZZZNS0_12_GLOBAL__N_137scaled_modified_bessel_k0_kernel_cudaERNS_18TensorIteratorBaseEENKUlvE_clEvENKUlvE_clEvEUldE_i15function_traitsIS7_EEENT1_11result_typeERKT_PrKPcPKT0_PKN3c1010ScalarTypeEi
                                        ; -- End function
	.section	.AMDGPU.csdata,"",@progbits
; Function info:
; codeLenInByte = 7552
; NumSgprs: 36
; NumVgprs: 23
; NumAgprs: 0
; TotalNumVgprs: 23
; ScratchSize: 0
; MemoryBound: 1
	.section	.text._ZN2at6native32elementwise_kernel_manual_unrollILi128ELi4EZNS0_15gpu_kernel_implIZZZNS0_12_GLOBAL__N_137scaled_modified_bessel_k0_kernel_cudaERNS_18TensorIteratorBaseEENKUlvE_clEvENKUlvE_clEvEUldE_EEvS5_RKT_EUlibE_EEviT1_,"axG",@progbits,_ZN2at6native32elementwise_kernel_manual_unrollILi128ELi4EZNS0_15gpu_kernel_implIZZZNS0_12_GLOBAL__N_137scaled_modified_bessel_k0_kernel_cudaERNS_18TensorIteratorBaseEENKUlvE_clEvENKUlvE_clEvEUldE_EEvS5_RKT_EUlibE_EEviT1_,comdat
	.globl	_ZN2at6native32elementwise_kernel_manual_unrollILi128ELi4EZNS0_15gpu_kernel_implIZZZNS0_12_GLOBAL__N_137scaled_modified_bessel_k0_kernel_cudaERNS_18TensorIteratorBaseEENKUlvE_clEvENKUlvE_clEvEUldE_EEvS5_RKT_EUlibE_EEviT1_ ; -- Begin function _ZN2at6native32elementwise_kernel_manual_unrollILi128ELi4EZNS0_15gpu_kernel_implIZZZNS0_12_GLOBAL__N_137scaled_modified_bessel_k0_kernel_cudaERNS_18TensorIteratorBaseEENKUlvE_clEvENKUlvE_clEvEUldE_EEvS5_RKT_EUlibE_EEviT1_
	.p2align	8
	.type	_ZN2at6native32elementwise_kernel_manual_unrollILi128ELi4EZNS0_15gpu_kernel_implIZZZNS0_12_GLOBAL__N_137scaled_modified_bessel_k0_kernel_cudaERNS_18TensorIteratorBaseEENKUlvE_clEvENKUlvE_clEvEUldE_EEvS5_RKT_EUlibE_EEviT1_,@function
_ZN2at6native32elementwise_kernel_manual_unrollILi128ELi4EZNS0_15gpu_kernel_implIZZZNS0_12_GLOBAL__N_137scaled_modified_bessel_k0_kernel_cudaERNS_18TensorIteratorBaseEENKUlvE_clEvENKUlvE_clEvEUldE_EEvS5_RKT_EUlibE_EEviT1_: ; @_ZN2at6native32elementwise_kernel_manual_unrollILi128ELi4EZNS0_15gpu_kernel_implIZZZNS0_12_GLOBAL__N_137scaled_modified_bessel_k0_kernel_cudaERNS_18TensorIteratorBaseEENKUlvE_clEvENKUlvE_clEvEUldE_EEvS5_RKT_EUlibE_EEviT1_
; %bb.0:
	v_mov_b32_e32 v1, 0
	global_load_ushort v32, v1, s[4:5] offset:33
	s_load_dwordx4 s[36:39], s[4:5], 0x8
	s_load_dwordx2 s[28:29], s[4:5], 0x18
	s_load_dword s33, s[4:5], 0x0
	s_add_u32 flat_scratch_lo, s6, s9
	s_addc_u32 flat_scratch_hi, s7, 0
	v_lshl_or_b32 v23, s8, 9, v0
	s_add_u32 s0, s0, s9
	v_or_b32_e32 v31, 0x180, v23
	s_addc_u32 s1, s1, 0
	s_mov_b64 s[34:35], 0
	s_waitcnt lgkmcnt(0)
	v_cmp_le_i32_e32 vcc, s33, v31
	s_mov_b64 s[42:43], 0
	s_mov_b32 s32, 0
	s_waitcnt vmcnt(0)
	v_lshrrev_b16_e32 v30, 8, v32
	s_and_saveexec_b64 s[4:5], vcc
	s_xor_b64 s[40:41], exec, s[4:5]
	s_cbranch_execz .LBB9_508
; %bb.1:
	v_cmp_gt_i32_e32 vcc, s33, v23
	s_mov_b64 s[4:5], -1
	s_mov_b64 s[48:49], 0
	s_and_saveexec_b64 s[44:45], vcc
                                        ; implicit-def: $vgpr2_vgpr3
	s_cbranch_execz .LBB9_124
; %bb.2:
	v_mov_b32_e32 v0, s38
	v_mov_b32_e32 v1, s39
	;; [unrolled: 1-line block ×5, first 2 shown]
	s_getpc_b64 s[4:5]
	s_add_u32 s4, s4, _ZN2at6native6invokeIZZZNS0_12_GLOBAL__N_137scaled_modified_bessel_k0_kernel_cudaERNS_18TensorIteratorBaseEENKUlvE_clEvENKUlvE_clEvEUldE_i15function_traitsIS7_EEENT1_11result_typeERKT_PrKPcPKT0_PKN3c1010ScalarTypeEi@rel32@lo+4
	s_addc_u32 s5, s5, _ZN2at6native6invokeIZZZNS0_12_GLOBAL__N_137scaled_modified_bessel_k0_kernel_cudaERNS_18TensorIteratorBaseEENKUlvE_clEvENKUlvE_clEvEUldE_i15function_traitsIS7_EEENT1_11result_typeERKT_PrKPcPKT0_PKN3c1010ScalarTypeEi@rel32@hi+12
	s_swappc_b64 s[30:31], s[4:5]
	v_mul_lo_u32 v2, v23, s28
	v_ashrrev_i32_e32 v3, 31, v2
	v_mov_b32_e32 v5, s37
	v_add_co_u32_e32 v4, vcc, s36, v2
	v_mov_b32_e32 v2, 11
	v_addc_co_u32_e32 v5, vcc, v5, v3, vcc
	v_cmp_lt_i16_sdwa s[4:5], v32, v2 src0_sel:BYTE_0 src1_sel:DWORD
	s_and_b64 vcc, exec, s[4:5]
	s_cbranch_vccnz .LBB9_9
; %bb.3:
	v_mov_b32_e32 v2, 25
	v_cmp_gt_i16_sdwa s[4:5], v32, v2 src0_sel:BYTE_0 src1_sel:DWORD
	s_and_b64 vcc, exec, s[4:5]
	s_cbranch_vccz .LBB9_12
; %bb.4:
	v_mov_b32_e32 v2, 28
	v_cmp_gt_i16_sdwa s[4:5], v32, v2 src0_sel:BYTE_0 src1_sel:DWORD
	s_and_b64 vcc, exec, s[4:5]
	s_cbranch_vccz .LBB9_13
	;; [unrolled: 5-line block ×4, first 2 shown]
; %bb.7:
	v_mov_b32_e32 v2, 46
	v_cmp_eq_u16_sdwa s[6:7], v32, v2 src0_sel:BYTE_0 src1_sel:DWORD
	s_mov_b64 s[8:9], 0
	s_mov_b64 s[4:5], -1
	s_and_b64 vcc, exec, s[6:7]
	s_mov_b64 s[6:7], 0
	s_cbranch_vccz .LBB9_16
; %bb.8:
	v_cvt_f32_f64_e32 v2, v[0:1]
	v_bfe_u32 v3, v2, 16, 1
	s_movk_i32 s4, 0x7fff
	v_add3_u32 v3, v2, v3, s4
	v_lshrrev_b32_e32 v3, 16, v3
	v_mov_b32_e32 v6, 0x7fc0
	v_cmp_o_f32_e32 vcc, v2, v2
	v_cndmask_b32_e32 v2, v6, v3, vcc
	global_store_dword v[4:5], v2, off
	s_mov_b64 s[6:7], -1
	s_mov_b64 s[4:5], 0
	s_branch .LBB9_16
.LBB9_9:
	s_mov_b64 s[4:5], 0
	s_mov_b64 s[6:7], 0
	s_cbranch_execnz .LBB9_84
.LBB9_10:
	s_andn2_b64 vcc, exec, s[6:7]
	s_cbranch_vccnz .LBB9_122
.LBB9_11:
	v_add_u32_e32 v23, 0x80, v23
	s_mov_b64 s[6:7], -1
	s_branch .LBB9_123
.LBB9_12:
	s_mov_b64 s[4:5], 0
	s_mov_b64 s[6:7], 0
	s_cbranch_execnz .LBB9_43
	s_branch .LBB9_83
.LBB9_13:
	s_mov_b64 s[8:9], -1
	s_mov_b64 s[4:5], 0
	s_mov_b64 s[6:7], 0
	s_branch .LBB9_26
.LBB9_14:
	s_mov_b64 s[8:9], -1
	s_mov_b64 s[4:5], 0
	s_mov_b64 s[6:7], 0
	s_branch .LBB9_22
.LBB9_15:
	s_mov_b64 s[8:9], -1
	s_mov_b64 s[4:5], 0
	s_mov_b64 s[6:7], 0
.LBB9_16:
	s_and_b64 vcc, exec, s[8:9]
	s_cbranch_vccz .LBB9_21
; %bb.17:
	v_mov_b32_e32 v2, 44
	v_cmp_eq_u16_sdwa s[8:9], v32, v2 src0_sel:BYTE_0 src1_sel:DWORD
	s_mov_b64 s[4:5], -1
	s_and_b64 vcc, exec, s[8:9]
	s_cbranch_vccz .LBB9_21
; %bb.18:
	v_cvt_f32_f64_e32 v2, v[0:1]
	v_bfe_u32 v3, v2, 23, 8
	s_movk_i32 s4, 0xff
	v_cmp_ne_u32_e32 vcc, s4, v3
	v_mov_b32_e32 v6, 0xff
	s_and_saveexec_b64 s[6:7], vcc
; %bb.19:
	s_mov_b32 s4, 0x3fffff
	v_lshrrev_b32_e32 v6, 23, v2
	v_and_b32_e32 v7, 0x400000, v2
	v_and_or_b32 v2, v2, s4, v3
	v_cmp_ne_u32_e32 vcc, 0, v7
	v_cmp_ne_u32_e64 s[4:5], 0, v2
	s_and_b64 s[4:5], vcc, s[4:5]
	v_cndmask_b32_e64 v2, 0, 1, s[4:5]
	v_add_u32_e32 v6, v6, v2
; %bb.20:
	s_or_b64 exec, exec, s[6:7]
	s_mov_b64 s[6:7], -1
	s_mov_b64 s[4:5], 0
	global_store_byte v[4:5], v6, off
.LBB9_21:
	s_mov_b64 s[8:9], 0
.LBB9_22:
	s_and_b64 vcc, exec, s[8:9]
	s_cbranch_vccz .LBB9_25
; %bb.23:
	v_mov_b32_e32 v2, 29
	v_cmp_eq_u16_sdwa s[8:9], v32, v2 src0_sel:BYTE_0 src1_sel:DWORD
	s_mov_b64 s[4:5], -1
	s_and_b64 vcc, exec, s[8:9]
	s_cbranch_vccz .LBB9_25
; %bb.24:
	v_trunc_f64_e32 v[2:3], v[0:1]
	s_movk_i32 s4, 0xffe0
	v_ldexp_f64 v[6:7], v[2:3], s4
	v_floor_f64_e32 v[6:7], v[6:7]
	v_fmac_f64_e32 v[2:3], 0xc1f00000, v[6:7]
	v_cvt_u32_f64_e32 v9, v[6:7]
	v_cvt_u32_f64_e32 v8, v[2:3]
	global_store_dwordx2 v[4:5], v[8:9], off
	s_mov_b64 s[6:7], -1
	s_mov_b64 s[4:5], 0
.LBB9_25:
	s_mov_b64 s[8:9], 0
.LBB9_26:
	s_and_b64 vcc, exec, s[8:9]
	s_cbranch_vccz .LBB9_42
; %bb.27:
	v_mov_b32_e32 v2, 27
	v_cmp_lt_i16_sdwa s[8:9], v32, v2 src0_sel:BYTE_0 src1_sel:DWORD
	s_mov_b64 s[6:7], -1
	s_and_b64 vcc, exec, s[8:9]
	s_cbranch_vccnz .LBB9_33
; %bb.28:
	v_cmp_gt_i16_sdwa s[8:9], v32, v2 src0_sel:BYTE_0 src1_sel:DWORD
	s_and_b64 vcc, exec, s[8:9]
	v_cvt_u32_f64_e32 v2, v[0:1]
	s_cbranch_vccz .LBB9_30
; %bb.29:
	s_mov_b64 s[6:7], 0
	global_store_dword v[4:5], v2, off
.LBB9_30:
	s_andn2_b64 vcc, exec, s[6:7]
	s_cbranch_vccnz .LBB9_32
; %bb.31:
	global_store_short v[4:5], v2, off
.LBB9_32:
	s_mov_b64 s[6:7], 0
.LBB9_33:
	s_andn2_b64 vcc, exec, s[6:7]
	s_cbranch_vccnz .LBB9_41
; %bb.34:
	v_cvt_f32_f64_e32 v2, v[0:1]
	v_and_b32_e32 v3, 0x7fffffff, v2
	s_mov_b32 s6, 0x43800000
	v_cmp_gt_u32_e32 vcc, s6, v3
	v_mov_b32_e32 v6, 0x80
	s_and_saveexec_b64 s[6:7], vcc
	s_cbranch_execz .LBB9_40
; %bb.35:
	s_mov_b32 s8, 0x3bffffff
	v_cmp_lt_u32_e32 vcc, s8, v3
	s_mov_b64 s[8:9], 0
                                        ; implicit-def: $vgpr3
	s_and_saveexec_b64 s[10:11], vcc
	s_xor_b64 s[10:11], exec, s[10:11]
	s_cbranch_execz .LBB9_141
; %bb.36:
	v_bfe_u32 v3, v2, 20, 1
	s_mov_b32 s12, 0x487ffff
	v_add3_u32 v3, v2, v3, s12
	s_mov_b64 s[8:9], exec
	v_lshrrev_b32_e32 v3, 20, v3
	s_or_saveexec_b64 s[10:11], s[10:11]
                                        ; implicit-def: $sgpr12
	s_xor_b64 exec, exec, s[10:11]
	s_cbranch_execnz .LBB9_142
.LBB9_37:
	s_or_b64 exec, exec, s[10:11]
	v_mov_b32_e32 v6, s12
	s_and_saveexec_b64 s[10:11], s[8:9]
.LBB9_38:
	v_lshrrev_b32_e32 v2, 24, v2
	s_movk_i32 s8, 0x80
	v_and_or_b32 v6, v2, s8, v3
.LBB9_39:
	s_or_b64 exec, exec, s[10:11]
.LBB9_40:
	s_or_b64 exec, exec, s[6:7]
	global_store_byte v[4:5], v6, off
.LBB9_41:
	s_mov_b64 s[6:7], -1
.LBB9_42:
	s_branch .LBB9_83
.LBB9_43:
	v_mov_b32_e32 v2, 22
	v_cmp_gt_i16_sdwa s[10:11], v32, v2 src0_sel:BYTE_0 src1_sel:DWORD
	s_mov_b64 s[8:9], -1
	s_and_b64 vcc, exec, s[10:11]
	s_cbranch_vccz .LBB9_75
; %bb.44:
	v_mov_b32_e32 v2, 24
	v_cmp_lt_i16_sdwa s[8:9], v32, v2 src0_sel:BYTE_0 src1_sel:DWORD
	s_mov_b64 s[6:7], -1
	s_and_b64 vcc, exec, s[8:9]
	s_cbranch_vccnz .LBB9_64
; %bb.45:
	v_cmp_gt_i16_sdwa s[8:9], v32, v2 src0_sel:BYTE_0 src1_sel:DWORD
	s_and_b64 vcc, exec, s[8:9]
	s_cbranch_vccz .LBB9_53
; %bb.46:
	v_cvt_f32_f64_e32 v2, v[0:1]
	v_and_b32_e32 v3, 0x7fffffff, v2
	s_mov_b32 s6, 0x47800000
	v_cmp_gt_u32_e32 vcc, s6, v3
	v_mov_b32_e32 v6, 0x80
	s_and_saveexec_b64 s[6:7], vcc
	s_cbranch_execz .LBB9_52
; %bb.47:
	s_mov_b32 s8, 0x37ffffff
	v_cmp_lt_u32_e32 vcc, s8, v3
	s_mov_b64 s[8:9], 0
                                        ; implicit-def: $vgpr3
	s_and_saveexec_b64 s[10:11], vcc
	s_xor_b64 s[10:11], exec, s[10:11]
	s_cbranch_execz .LBB9_144
; %bb.48:
	v_bfe_u32 v3, v2, 21, 1
	s_mov_b32 s12, 0x88fffff
	v_add3_u32 v3, v2, v3, s12
	s_mov_b64 s[8:9], exec
	v_lshrrev_b32_e32 v3, 21, v3
	s_or_saveexec_b64 s[10:11], s[10:11]
                                        ; implicit-def: $sgpr12
	s_xor_b64 exec, exec, s[10:11]
	s_cbranch_execnz .LBB9_145
.LBB9_49:
	s_or_b64 exec, exec, s[10:11]
	v_mov_b32_e32 v6, s12
	s_and_saveexec_b64 s[10:11], s[8:9]
.LBB9_50:
	v_lshrrev_b32_e32 v2, 24, v2
	s_movk_i32 s8, 0x80
	v_and_or_b32 v6, v2, s8, v3
.LBB9_51:
	s_or_b64 exec, exec, s[10:11]
.LBB9_52:
	s_or_b64 exec, exec, s[6:7]
	s_mov_b64 s[6:7], 0
	global_store_byte v[4:5], v6, off
.LBB9_53:
	s_and_b64 vcc, exec, s[6:7]
	s_cbranch_vccz .LBB9_63
; %bb.54:
	v_cvt_f32_f64_e32 v2, v[0:1]
	v_and_b32_e32 v6, 0x7fffffff, v2
	s_mov_b32 s6, 0x43f00000
	v_cmp_gt_u32_e32 vcc, s6, v6
                                        ; implicit-def: $vgpr3
	s_and_saveexec_b64 s[6:7], vcc
	s_xor_b64 s[6:7], exec, s[6:7]
	s_cbranch_execz .LBB9_60
; %bb.55:
	s_mov_b32 s8, 0x3c7fffff
	v_cmp_lt_u32_e32 vcc, s8, v6
                                        ; implicit-def: $vgpr3
	s_and_saveexec_b64 s[8:9], vcc
	s_xor_b64 s[8:9], exec, s[8:9]
; %bb.56:
	v_bfe_u32 v3, v2, 20, 1
	s_mov_b32 s10, 0x407ffff
	v_add3_u32 v3, v2, v3, s10
	v_lshrrev_b32_e32 v6, 20, v3
	v_and_b32_e32 v3, 0xff00000, v3
	s_mov_b32 s10, 0x7f00000
	v_mov_b32_e32 v7, 0x7e
	v_cmp_ne_u32_e32 vcc, s10, v3
	v_cndmask_b32_e32 v3, v7, v6, vcc
; %bb.57:
	s_andn2_saveexec_b64 s[8:9], s[8:9]
; %bb.58:
	s_mov_b32 s10, 0x46800000
	v_add_f32_e64 v3, |v2|, s10
; %bb.59:
	s_or_b64 exec, exec, s[8:9]
                                        ; implicit-def: $vgpr6
.LBB9_60:
	s_andn2_saveexec_b64 s[6:7], s[6:7]
; %bb.61:
	s_mov_b32 s8, 0x7f800000
	v_mov_b32_e32 v3, 0x7e
	v_mov_b32_e32 v7, 0x7f
	v_cmp_lt_u32_e32 vcc, s8, v6
	v_cndmask_b32_e32 v3, v3, v7, vcc
; %bb.62:
	s_or_b64 exec, exec, s[6:7]
	v_lshrrev_b32_e32 v2, 24, v2
	s_movk_i32 s6, 0x80
	v_and_or_b32 v2, v2, s6, v3
	global_store_byte v[4:5], v2, off
.LBB9_63:
	s_mov_b64 s[6:7], 0
.LBB9_64:
	s_andn2_b64 vcc, exec, s[6:7]
	s_cbranch_vccnz .LBB9_74
; %bb.65:
	v_cvt_f32_f64_e32 v2, v[0:1]
	v_and_b32_e32 v6, 0x7fffffff, v2
	s_mov_b32 s6, 0x47800000
	v_cmp_gt_u32_e32 vcc, s6, v6
                                        ; implicit-def: $vgpr3
	s_and_saveexec_b64 s[6:7], vcc
	s_xor_b64 s[6:7], exec, s[6:7]
	s_cbranch_execz .LBB9_71
; %bb.66:
	s_mov_b32 s8, 0x387fffff
	v_cmp_lt_u32_e32 vcc, s8, v6
                                        ; implicit-def: $vgpr3
	s_and_saveexec_b64 s[8:9], vcc
	s_xor_b64 s[8:9], exec, s[8:9]
; %bb.67:
	v_bfe_u32 v3, v2, 21, 1
	s_mov_b32 s10, 0x80fffff
	v_add3_u32 v3, v2, v3, s10
	v_lshrrev_b32_e32 v3, 21, v3
; %bb.68:
	s_andn2_saveexec_b64 s[8:9], s[8:9]
; %bb.69:
	s_mov_b32 s10, 0x43000000
	v_add_f32_e64 v3, |v2|, s10
; %bb.70:
	s_or_b64 exec, exec, s[8:9]
                                        ; implicit-def: $vgpr6
.LBB9_71:
	s_andn2_saveexec_b64 s[6:7], s[6:7]
; %bb.72:
	s_mov_b32 s8, 0x7f800000
	v_mov_b32_e32 v3, 0x7c
	v_mov_b32_e32 v7, 0x7f
	v_cmp_lt_u32_e32 vcc, s8, v6
	v_cndmask_b32_e32 v3, v3, v7, vcc
; %bb.73:
	s_or_b64 exec, exec, s[6:7]
	v_lshrrev_b32_e32 v2, 24, v2
	s_movk_i32 s6, 0x80
	v_and_or_b32 v2, v2, s6, v3
	global_store_byte v[4:5], v2, off
.LBB9_74:
	s_mov_b64 s[8:9], 0
	s_mov_b64 s[6:7], -1
.LBB9_75:
	s_andn2_b64 vcc, exec, s[8:9]
	s_cbranch_vccnz .LBB9_83
; %bb.76:
	v_mov_b32_e32 v2, 14
	v_cmp_gt_i16_sdwa s[10:11], v32, v2 src0_sel:BYTE_0 src1_sel:DWORD
	s_mov_b64 s[8:9], -1
	s_and_b64 vcc, exec, s[10:11]
	s_cbranch_vccz .LBB9_80
; %bb.77:
	v_mov_b32_e32 v2, 15
	v_cmp_eq_u16_sdwa s[8:9], v32, v2 src0_sel:BYTE_0 src1_sel:DWORD
	s_mov_b64 s[4:5], -1
	s_and_b64 vcc, exec, s[8:9]
	s_cbranch_vccz .LBB9_79
; %bb.78:
	v_cvt_f32_f64_e32 v2, v[0:1]
	v_bfe_u32 v3, v2, 16, 1
	s_movk_i32 s4, 0x7fff
	v_add3_u32 v3, v2, v3, s4
	v_lshrrev_b32_e32 v3, 16, v3
	v_mov_b32_e32 v6, 0x7fc0
	v_cmp_o_f32_e32 vcc, v2, v2
	v_cndmask_b32_e32 v2, v6, v3, vcc
	global_store_short v[4:5], v2, off
	s_mov_b64 s[6:7], -1
	s_mov_b64 s[4:5], 0
.LBB9_79:
	s_mov_b64 s[8:9], 0
.LBB9_80:
	s_and_b64 vcc, exec, s[8:9]
	s_cbranch_vccz .LBB9_83
; %bb.81:
	v_mov_b32_e32 v2, 11
	v_cmp_eq_u16_sdwa s[8:9], v32, v2 src0_sel:BYTE_0 src1_sel:DWORD
	s_mov_b64 s[4:5], -1
	s_and_b64 vcc, exec, s[8:9]
	s_cbranch_vccz .LBB9_83
; %bb.82:
	v_cmp_neq_f64_e32 vcc, 0, v[0:1]
	s_mov_b64 s[4:5], 0
	v_cndmask_b32_e64 v2, 0, 1, vcc
	s_mov_b64 s[6:7], -1
	global_store_byte v[4:5], v2, off
.LBB9_83:
	s_branch .LBB9_10
.LBB9_84:
	v_mov_b32_e32 v2, 5
	v_cmp_lt_i16_sdwa s[8:9], v32, v2 src0_sel:BYTE_0 src1_sel:DWORD
	s_mov_b64 s[6:7], -1
	s_and_b64 vcc, exec, s[8:9]
	s_cbranch_vccnz .LBB9_105
; %bb.85:
	v_mov_b32_e32 v2, 8
	v_cmp_lt_i16_sdwa s[8:9], v32, v2 src0_sel:BYTE_0 src1_sel:DWORD
	s_and_b64 vcc, exec, s[8:9]
	s_cbranch_vccnz .LBB9_95
; %bb.86:
	v_mov_b32_e32 v2, 9
	v_cmp_lt_i16_sdwa s[8:9], v32, v2 src0_sel:BYTE_0 src1_sel:DWORD
	s_and_b64 vcc, exec, s[8:9]
	s_cbranch_vccnz .LBB9_92
; %bb.87:
	v_cmp_gt_i16_sdwa s[8:9], v32, v2 src0_sel:BYTE_0 src1_sel:DWORD
	s_and_b64 vcc, exec, s[8:9]
	s_cbranch_vccz .LBB9_89
; %bb.88:
	v_mov_b32_e32 v2, 0
	v_mov_b32_e32 v3, v2
	global_store_dwordx4 v[4:5], v[0:3], off
	s_mov_b64 s[6:7], 0
.LBB9_89:
	s_andn2_b64 vcc, exec, s[6:7]
	s_cbranch_vccnz .LBB9_91
; %bb.90:
	v_cvt_f32_f64_e32 v2, v[0:1]
	v_mov_b32_e32 v3, 0
	global_store_dwordx2 v[4:5], v[2:3], off
.LBB9_91:
	s_mov_b64 s[6:7], 0
.LBB9_92:
	s_andn2_b64 vcc, exec, s[6:7]
	s_cbranch_vccnz .LBB9_94
; %bb.93:
	v_cvt_f32_f64_e32 v2, v[0:1]
	v_cvt_f16_f32_e32 v2, v2
	global_store_dword v[4:5], v2, off
.LBB9_94:
	s_mov_b64 s[6:7], 0
.LBB9_95:
	s_andn2_b64 vcc, exec, s[6:7]
	s_cbranch_vccnz .LBB9_104
; %bb.96:
	v_mov_b32_e32 v2, 6
	v_cmp_lt_i16_sdwa s[8:9], v32, v2 src0_sel:BYTE_0 src1_sel:DWORD
	s_mov_b64 s[6:7], -1
	s_and_b64 vcc, exec, s[8:9]
	s_cbranch_vccnz .LBB9_102
; %bb.97:
	v_cmp_gt_i16_sdwa s[8:9], v32, v2 src0_sel:BYTE_0 src1_sel:DWORD
	s_and_b64 vcc, exec, s[8:9]
	s_cbranch_vccz .LBB9_99
; %bb.98:
	global_store_dwordx2 v[4:5], v[0:1], off
	s_mov_b64 s[6:7], 0
.LBB9_99:
	s_andn2_b64 vcc, exec, s[6:7]
	s_cbranch_vccnz .LBB9_101
; %bb.100:
	v_cvt_f32_f64_e32 v2, v[0:1]
	global_store_dword v[4:5], v2, off
.LBB9_101:
	s_mov_b64 s[6:7], 0
.LBB9_102:
	s_andn2_b64 vcc, exec, s[6:7]
	s_cbranch_vccnz .LBB9_104
; %bb.103:
	v_cvt_f32_f64_e32 v2, v[0:1]
	v_cvt_f16_f32_e32 v2, v2
	global_store_short v[4:5], v2, off
.LBB9_104:
	s_mov_b64 s[6:7], 0
.LBB9_105:
	s_andn2_b64 vcc, exec, s[6:7]
	s_cbranch_vccnz .LBB9_121
; %bb.106:
	v_mov_b32_e32 v2, 2
	v_cmp_lt_i16_sdwa s[8:9], v32, v2 src0_sel:BYTE_0 src1_sel:DWORD
	s_mov_b64 s[6:7], -1
	s_and_b64 vcc, exec, s[8:9]
	s_cbranch_vccnz .LBB9_116
; %bb.107:
	v_mov_b32_e32 v2, 3
	v_cmp_lt_i16_sdwa s[8:9], v32, v2 src0_sel:BYTE_0 src1_sel:DWORD
	s_and_b64 vcc, exec, s[8:9]
	s_cbranch_vccnz .LBB9_113
; %bb.108:
	v_cmp_gt_i16_sdwa s[8:9], v32, v2 src0_sel:BYTE_0 src1_sel:DWORD
	s_and_b64 vcc, exec, s[8:9]
	s_cbranch_vccz .LBB9_110
; %bb.109:
	v_trunc_f64_e32 v[2:3], v[0:1]
	s_movk_i32 s6, 0xffe0
	v_ldexp_f64 v[6:7], v[2:3], s6
	v_floor_f64_e32 v[6:7], v[6:7]
	v_fmac_f64_e32 v[2:3], 0xc1f00000, v[6:7]
	v_cvt_i32_f64_e32 v9, v[6:7]
	v_cvt_u32_f64_e32 v8, v[2:3]
	global_store_dwordx2 v[4:5], v[8:9], off
	s_mov_b64 s[6:7], 0
.LBB9_110:
	s_andn2_b64 vcc, exec, s[6:7]
	s_cbranch_vccnz .LBB9_112
; %bb.111:
	v_cvt_i32_f64_e32 v2, v[0:1]
	global_store_dword v[4:5], v2, off
.LBB9_112:
	s_mov_b64 s[6:7], 0
.LBB9_113:
	s_andn2_b64 vcc, exec, s[6:7]
	s_cbranch_vccnz .LBB9_115
; %bb.114:
	v_cvt_i32_f64_e32 v2, v[0:1]
	global_store_short v[4:5], v2, off
.LBB9_115:
	s_mov_b64 s[6:7], 0
.LBB9_116:
	s_andn2_b64 vcc, exec, s[6:7]
	s_cbranch_vccnz .LBB9_121
; %bb.117:
	v_mov_b32_e32 v2, 0
	v_cmp_gt_i16_sdwa s[8:9], v32, v2 src0_sel:BYTE_0 src1_sel:DWORD
	s_mov_b64 s[6:7], -1
	s_and_b64 vcc, exec, s[8:9]
	s_cbranch_vccz .LBB9_119
; %bb.118:
	v_cvt_i32_f64_e32 v2, v[0:1]
	global_store_byte v[4:5], v2, off
	s_mov_b64 s[6:7], 0
.LBB9_119:
	s_andn2_b64 vcc, exec, s[6:7]
	s_cbranch_vccnz .LBB9_121
; %bb.120:
	v_trunc_f64_e32 v[0:1], v[0:1]
	s_movk_i32 s6, 0xffe0
	v_ldexp_f64 v[2:3], v[0:1], s6
	v_floor_f64_e32 v[2:3], v[2:3]
	v_fmac_f64_e32 v[0:1], 0xc1f00000, v[2:3]
	v_cvt_u32_f64_e32 v0, v[0:1]
	global_store_byte v[4:5], v0, off
.LBB9_121:
	s_branch .LBB9_11
.LBB9_122:
	s_mov_b64 s[6:7], 0
                                        ; implicit-def: $vgpr23
.LBB9_123:
	s_and_b64 s[42:43], s[4:5], exec
	s_orn2_b64 s[4:5], s[6:7], exec
.LBB9_124:
	s_or_b64 exec, exec, s[44:45]
	s_mov_b64 s[6:7], 0
                                        ; implicit-def: $vgpr6
                                        ; implicit-def: $vgpr4_vgpr5
                                        ; implicit-def: $vgpr0_vgpr1
	s_and_saveexec_b64 s[44:45], s[4:5]
	s_cbranch_execz .LBB9_133
; %bb.125:
	v_cmp_gt_i32_e32 vcc, s33, v23
	s_mov_b64 s[8:9], -1
	s_mov_b64 s[46:47], s[42:43]
	s_and_saveexec_b64 s[48:49], vcc
	s_cbranch_execz .LBB9_256
; %bb.126:
	v_mov_b32_e32 v0, s38
	v_mov_b32_e32 v1, s39
	;; [unrolled: 1-line block ×5, first 2 shown]
	s_getpc_b64 s[4:5]
	s_add_u32 s4, s4, _ZN2at6native6invokeIZZZNS0_12_GLOBAL__N_137scaled_modified_bessel_k0_kernel_cudaERNS_18TensorIteratorBaseEENKUlvE_clEvENKUlvE_clEvEUldE_i15function_traitsIS7_EEENT1_11result_typeERKT_PrKPcPKT0_PKN3c1010ScalarTypeEi@rel32@lo+4
	s_addc_u32 s5, s5, _ZN2at6native6invokeIZZZNS0_12_GLOBAL__N_137scaled_modified_bessel_k0_kernel_cudaERNS_18TensorIteratorBaseEENKUlvE_clEvENKUlvE_clEvEUldE_i15function_traitsIS7_EEENT1_11result_typeERKT_PrKPcPKT0_PKN3c1010ScalarTypeEi@rel32@hi+12
	s_swappc_b64 s[30:31], s[4:5]
	v_mul_lo_u32 v2, v23, s28
	v_ashrrev_i32_e32 v3, 31, v2
	v_mov_b32_e32 v5, s37
	v_add_co_u32_e32 v4, vcc, s36, v2
	v_mov_b32_e32 v2, 11
	v_addc_co_u32_e32 v5, vcc, v5, v3, vcc
	v_cmp_lt_i16_sdwa s[4:5], v32, v2 src0_sel:BYTE_0 src1_sel:DWORD
	s_and_b64 vcc, exec, s[4:5]
	s_cbranch_vccnz .LBB9_136
; %bb.127:
	v_mov_b32_e32 v2, 25
	v_cmp_gt_i16_sdwa s[4:5], v32, v2 src0_sel:BYTE_0 src1_sel:DWORD
	s_and_b64 vcc, exec, s[4:5]
	s_cbranch_vccz .LBB9_139
; %bb.128:
	v_mov_b32_e32 v2, 28
	v_cmp_gt_i16_sdwa s[4:5], v32, v2 src0_sel:BYTE_0 src1_sel:DWORD
	s_and_b64 vcc, exec, s[4:5]
	s_cbranch_vccz .LBB9_140
	;; [unrolled: 5-line block ×4, first 2 shown]
; %bb.131:
	v_mov_b32_e32 v2, 46
	v_cmp_eq_u16_sdwa s[6:7], v32, v2 src0_sel:BYTE_0 src1_sel:DWORD
	s_mov_b64 s[8:9], 0
	s_mov_b64 s[4:5], -1
	s_and_b64 vcc, exec, s[6:7]
	s_mov_b64 s[6:7], 0
	s_cbranch_vccz .LBB9_147
; %bb.132:
	v_cvt_f32_f64_e32 v2, v[0:1]
	v_bfe_u32 v3, v2, 16, 1
	s_movk_i32 s4, 0x7fff
	v_add3_u32 v3, v2, v3, s4
	v_lshrrev_b32_e32 v3, 16, v3
	v_mov_b32_e32 v6, 0x7fc0
	v_cmp_o_f32_e32 vcc, v2, v2
	v_cndmask_b32_e32 v2, v6, v3, vcc
	global_store_dword v[4:5], v2, off
	s_mov_b64 s[6:7], -1
	s_mov_b64 s[4:5], 0
	s_branch .LBB9_147
.LBB9_133:
	s_or_b64 exec, exec, s[44:45]
	s_mov_b64 s[4:5], 0
	s_and_saveexec_b64 s[8:9], s[42:43]
	s_cbranch_execnz .LBB9_468
.LBB9_134:
	s_or_b64 exec, exec, s[8:9]
	s_and_saveexec_b64 s[8:9], s[48:49]
	s_xor_b64 s[8:9], exec, s[8:9]
	s_cbranch_execz .LBB9_469
.LBB9_135:
	v_cmp_neq_f64_e32 vcc, 0, v[0:1]
	v_cndmask_b32_e64 v2, 0, 1, vcc
	global_store_byte v[4:5], v2, off
	s_or_b64 exec, exec, s[8:9]
	s_and_saveexec_b64 s[8:9], s[6:7]
	s_xor_b64 s[6:7], exec, s[8:9]
	s_cbranch_execz .LBB9_507
	s_branch .LBB9_470
.LBB9_136:
	s_mov_b64 s[6:7], 0
	s_mov_b64 s[4:5], s[42:43]
	s_cbranch_execnz .LBB9_216
.LBB9_137:
	s_andn2_b64 vcc, exec, s[6:7]
	s_cbranch_vccnz .LBB9_254
.LBB9_138:
	v_add_u32_e32 v23, 0x80, v23
	s_mov_b64 s[6:7], -1
	s_branch .LBB9_255
.LBB9_139:
	s_mov_b64 s[8:9], -1
	s_mov_b64 s[6:7], 0
	s_mov_b64 s[4:5], s[42:43]
	s_branch .LBB9_174
.LBB9_140:
	s_mov_b64 s[8:9], -1
	s_mov_b64 s[6:7], 0
	s_mov_b64 s[4:5], s[42:43]
	s_branch .LBB9_157
.LBB9_141:
	s_or_saveexec_b64 s[10:11], s[10:11]
                                        ; implicit-def: $sgpr12
	s_xor_b64 exec, exec, s[10:11]
	s_cbranch_execz .LBB9_37
.LBB9_142:
	s_mov_b32 s12, 0x46000000
	v_add_f32_e64 v3, |v2|, s12
	v_and_b32_e32 v3, 0xff, v3
	v_cmp_ne_u32_e32 vcc, 0, v3
	s_andn2_b64 s[8:9], s[8:9], exec
	s_and_b64 s[14:15], vcc, exec
	s_mov_b32 s12, 0
	s_or_b64 s[8:9], s[8:9], s[14:15]
	s_or_b64 exec, exec, s[10:11]
	v_mov_b32_e32 v6, s12
	s_and_saveexec_b64 s[10:11], s[8:9]
	s_cbranch_execnz .LBB9_38
	s_branch .LBB9_39
.LBB9_143:
	s_mov_b64 s[8:9], -1
	s_mov_b64 s[6:7], 0
	s_mov_b64 s[4:5], s[42:43]
	s_branch .LBB9_153
.LBB9_144:
	s_or_saveexec_b64 s[10:11], s[10:11]
                                        ; implicit-def: $sgpr12
	s_xor_b64 exec, exec, s[10:11]
	s_cbranch_execz .LBB9_49
.LBB9_145:
	s_mov_b32 s12, 0x42800000
	v_add_f32_e64 v3, |v2|, s12
	v_and_b32_e32 v3, 0xff, v3
	v_cmp_ne_u32_e32 vcc, 0, v3
	s_andn2_b64 s[8:9], s[8:9], exec
	s_and_b64 s[14:15], vcc, exec
	s_mov_b32 s12, 0
	s_or_b64 s[8:9], s[8:9], s[14:15]
	s_or_b64 exec, exec, s[10:11]
	v_mov_b32_e32 v6, s12
	s_and_saveexec_b64 s[10:11], s[8:9]
	s_cbranch_execnz .LBB9_50
	s_branch .LBB9_51
.LBB9_146:
	s_mov_b64 s[8:9], -1
	s_mov_b64 s[6:7], 0
	s_mov_b64 s[4:5], s[42:43]
.LBB9_147:
	s_and_b64 vcc, exec, s[8:9]
	s_cbranch_vccz .LBB9_152
; %bb.148:
	v_mov_b32_e32 v2, 44
	v_cmp_eq_u16_sdwa s[8:9], v32, v2 src0_sel:BYTE_0 src1_sel:DWORD
	s_mov_b64 s[4:5], -1
	s_and_b64 vcc, exec, s[8:9]
	s_cbranch_vccz .LBB9_152
; %bb.149:
	v_cvt_f32_f64_e32 v2, v[0:1]
	v_bfe_u32 v3, v2, 23, 8
	s_movk_i32 s4, 0xff
	v_cmp_ne_u32_e32 vcc, s4, v3
	v_mov_b32_e32 v6, 0xff
	s_and_saveexec_b64 s[6:7], vcc
; %bb.150:
	s_mov_b32 s4, 0x3fffff
	v_lshrrev_b32_e32 v6, 23, v2
	v_and_b32_e32 v7, 0x400000, v2
	v_and_or_b32 v2, v2, s4, v3
	v_cmp_ne_u32_e32 vcc, 0, v7
	v_cmp_ne_u32_e64 s[4:5], 0, v2
	s_and_b64 s[4:5], vcc, s[4:5]
	v_cndmask_b32_e64 v2, 0, 1, s[4:5]
	v_add_u32_e32 v6, v6, v2
; %bb.151:
	s_or_b64 exec, exec, s[6:7]
	s_mov_b64 s[6:7], -1
	s_mov_b64 s[4:5], 0
	global_store_byte v[4:5], v6, off
.LBB9_152:
	s_mov_b64 s[8:9], 0
.LBB9_153:
	s_and_b64 vcc, exec, s[8:9]
	s_cbranch_vccz .LBB9_156
; %bb.154:
	v_mov_b32_e32 v2, 29
	v_cmp_eq_u16_sdwa s[8:9], v32, v2 src0_sel:BYTE_0 src1_sel:DWORD
	s_mov_b64 s[4:5], -1
	s_and_b64 vcc, exec, s[8:9]
	s_cbranch_vccz .LBB9_156
; %bb.155:
	v_trunc_f64_e32 v[2:3], v[0:1]
	s_movk_i32 s4, 0xffe0
	v_ldexp_f64 v[6:7], v[2:3], s4
	v_floor_f64_e32 v[6:7], v[6:7]
	v_fmac_f64_e32 v[2:3], 0xc1f00000, v[6:7]
	v_cvt_u32_f64_e32 v9, v[6:7]
	v_cvt_u32_f64_e32 v8, v[2:3]
	global_store_dwordx2 v[4:5], v[8:9], off
	s_mov_b64 s[6:7], -1
	s_mov_b64 s[4:5], 0
.LBB9_156:
	s_mov_b64 s[8:9], 0
.LBB9_157:
	s_and_b64 vcc, exec, s[8:9]
	s_cbranch_vccz .LBB9_173
; %bb.158:
	v_mov_b32_e32 v2, 27
	v_cmp_lt_i16_sdwa s[8:9], v32, v2 src0_sel:BYTE_0 src1_sel:DWORD
	s_mov_b64 s[6:7], -1
	s_and_b64 vcc, exec, s[8:9]
	s_cbranch_vccnz .LBB9_164
; %bb.159:
	v_cmp_gt_i16_sdwa s[8:9], v32, v2 src0_sel:BYTE_0 src1_sel:DWORD
	s_and_b64 vcc, exec, s[8:9]
	v_cvt_u32_f64_e32 v2, v[0:1]
	s_cbranch_vccz .LBB9_161
; %bb.160:
	s_mov_b64 s[6:7], 0
	global_store_dword v[4:5], v2, off
.LBB9_161:
	s_andn2_b64 vcc, exec, s[6:7]
	s_cbranch_vccnz .LBB9_163
; %bb.162:
	global_store_short v[4:5], v2, off
.LBB9_163:
	s_mov_b64 s[6:7], 0
.LBB9_164:
	s_andn2_b64 vcc, exec, s[6:7]
	s_cbranch_vccnz .LBB9_172
; %bb.165:
	v_cvt_f32_f64_e32 v2, v[0:1]
	v_and_b32_e32 v3, 0x7fffffff, v2
	s_mov_b32 s6, 0x43800000
	v_cmp_gt_u32_e32 vcc, s6, v3
	v_mov_b32_e32 v6, 0x80
	s_and_saveexec_b64 s[6:7], vcc
	s_cbranch_execz .LBB9_171
; %bb.166:
	s_mov_b32 s8, 0x3bffffff
	v_cmp_lt_u32_e32 vcc, s8, v3
	s_mov_b64 s[8:9], 0
                                        ; implicit-def: $vgpr3
	s_and_saveexec_b64 s[10:11], vcc
	s_xor_b64 s[10:11], exec, s[10:11]
	s_cbranch_execz .LBB9_268
; %bb.167:
	v_bfe_u32 v3, v2, 20, 1
	s_mov_b32 s12, 0x487ffff
	v_add3_u32 v3, v2, v3, s12
	s_mov_b64 s[8:9], exec
	v_lshrrev_b32_e32 v3, 20, v3
	s_or_saveexec_b64 s[10:11], s[10:11]
                                        ; implicit-def: $sgpr12
	s_xor_b64 exec, exec, s[10:11]
	s_cbranch_execnz .LBB9_269
.LBB9_168:
	s_or_b64 exec, exec, s[10:11]
	v_mov_b32_e32 v6, s12
	s_and_saveexec_b64 s[10:11], s[8:9]
.LBB9_169:
	v_lshrrev_b32_e32 v2, 24, v2
	s_movk_i32 s8, 0x80
	v_and_or_b32 v6, v2, s8, v3
.LBB9_170:
	s_or_b64 exec, exec, s[10:11]
.LBB9_171:
	s_or_b64 exec, exec, s[6:7]
	global_store_byte v[4:5], v6, off
.LBB9_172:
	s_mov_b64 s[6:7], -1
.LBB9_173:
	s_mov_b64 s[8:9], 0
.LBB9_174:
	s_and_b64 vcc, exec, s[8:9]
	s_cbranch_vccz .LBB9_215
; %bb.175:
	v_mov_b32_e32 v2, 22
	v_cmp_gt_i16_sdwa s[10:11], v32, v2 src0_sel:BYTE_0 src1_sel:DWORD
	s_mov_b64 s[8:9], -1
	s_and_b64 vcc, exec, s[10:11]
	s_cbranch_vccz .LBB9_207
; %bb.176:
	v_mov_b32_e32 v2, 24
	v_cmp_lt_i16_sdwa s[8:9], v32, v2 src0_sel:BYTE_0 src1_sel:DWORD
	s_mov_b64 s[6:7], -1
	s_and_b64 vcc, exec, s[8:9]
	s_cbranch_vccnz .LBB9_196
; %bb.177:
	v_cmp_gt_i16_sdwa s[8:9], v32, v2 src0_sel:BYTE_0 src1_sel:DWORD
	s_and_b64 vcc, exec, s[8:9]
	s_cbranch_vccz .LBB9_185
; %bb.178:
	v_cvt_f32_f64_e32 v2, v[0:1]
	v_and_b32_e32 v3, 0x7fffffff, v2
	s_mov_b32 s6, 0x47800000
	v_cmp_gt_u32_e32 vcc, s6, v3
	v_mov_b32_e32 v6, 0x80
	s_and_saveexec_b64 s[6:7], vcc
	s_cbranch_execz .LBB9_184
; %bb.179:
	s_mov_b32 s8, 0x37ffffff
	v_cmp_lt_u32_e32 vcc, s8, v3
	s_mov_b64 s[8:9], 0
                                        ; implicit-def: $vgpr3
	s_and_saveexec_b64 s[10:11], vcc
	s_xor_b64 s[10:11], exec, s[10:11]
	s_cbranch_execz .LBB9_271
; %bb.180:
	v_bfe_u32 v3, v2, 21, 1
	s_mov_b32 s12, 0x88fffff
	v_add3_u32 v3, v2, v3, s12
	s_mov_b64 s[8:9], exec
	v_lshrrev_b32_e32 v3, 21, v3
	s_or_saveexec_b64 s[10:11], s[10:11]
                                        ; implicit-def: $sgpr12
	s_xor_b64 exec, exec, s[10:11]
	s_cbranch_execnz .LBB9_272
.LBB9_181:
	s_or_b64 exec, exec, s[10:11]
	v_mov_b32_e32 v6, s12
	s_and_saveexec_b64 s[10:11], s[8:9]
.LBB9_182:
	v_lshrrev_b32_e32 v2, 24, v2
	s_movk_i32 s8, 0x80
	v_and_or_b32 v6, v2, s8, v3
.LBB9_183:
	s_or_b64 exec, exec, s[10:11]
.LBB9_184:
	s_or_b64 exec, exec, s[6:7]
	s_mov_b64 s[6:7], 0
	global_store_byte v[4:5], v6, off
.LBB9_185:
	s_and_b64 vcc, exec, s[6:7]
	s_cbranch_vccz .LBB9_195
; %bb.186:
	v_cvt_f32_f64_e32 v2, v[0:1]
	v_and_b32_e32 v6, 0x7fffffff, v2
	s_mov_b32 s6, 0x43f00000
	v_cmp_gt_u32_e32 vcc, s6, v6
                                        ; implicit-def: $vgpr3
	s_and_saveexec_b64 s[6:7], vcc
	s_xor_b64 s[6:7], exec, s[6:7]
	s_cbranch_execz .LBB9_192
; %bb.187:
	s_mov_b32 s8, 0x3c7fffff
	v_cmp_lt_u32_e32 vcc, s8, v6
                                        ; implicit-def: $vgpr3
	s_and_saveexec_b64 s[8:9], vcc
	s_xor_b64 s[8:9], exec, s[8:9]
; %bb.188:
	v_bfe_u32 v3, v2, 20, 1
	s_mov_b32 s10, 0x407ffff
	v_add3_u32 v3, v2, v3, s10
	v_lshrrev_b32_e32 v6, 20, v3
	v_and_b32_e32 v3, 0xff00000, v3
	s_mov_b32 s10, 0x7f00000
	v_mov_b32_e32 v7, 0x7e
	v_cmp_ne_u32_e32 vcc, s10, v3
	v_cndmask_b32_e32 v3, v7, v6, vcc
; %bb.189:
	s_andn2_saveexec_b64 s[8:9], s[8:9]
; %bb.190:
	s_mov_b32 s10, 0x46800000
	v_add_f32_e64 v3, |v2|, s10
; %bb.191:
	s_or_b64 exec, exec, s[8:9]
                                        ; implicit-def: $vgpr6
.LBB9_192:
	s_andn2_saveexec_b64 s[6:7], s[6:7]
; %bb.193:
	s_mov_b32 s8, 0x7f800000
	v_mov_b32_e32 v3, 0x7e
	v_mov_b32_e32 v7, 0x7f
	v_cmp_lt_u32_e32 vcc, s8, v6
	v_cndmask_b32_e32 v3, v3, v7, vcc
; %bb.194:
	s_or_b64 exec, exec, s[6:7]
	v_lshrrev_b32_e32 v2, 24, v2
	s_movk_i32 s6, 0x80
	v_and_or_b32 v2, v2, s6, v3
	global_store_byte v[4:5], v2, off
.LBB9_195:
	s_mov_b64 s[6:7], 0
.LBB9_196:
	s_andn2_b64 vcc, exec, s[6:7]
	s_cbranch_vccnz .LBB9_206
; %bb.197:
	v_cvt_f32_f64_e32 v2, v[0:1]
	v_and_b32_e32 v6, 0x7fffffff, v2
	s_mov_b32 s6, 0x47800000
	v_cmp_gt_u32_e32 vcc, s6, v6
                                        ; implicit-def: $vgpr3
	s_and_saveexec_b64 s[6:7], vcc
	s_xor_b64 s[6:7], exec, s[6:7]
	s_cbranch_execz .LBB9_203
; %bb.198:
	s_mov_b32 s8, 0x387fffff
	v_cmp_lt_u32_e32 vcc, s8, v6
                                        ; implicit-def: $vgpr3
	s_and_saveexec_b64 s[8:9], vcc
	s_xor_b64 s[8:9], exec, s[8:9]
; %bb.199:
	v_bfe_u32 v3, v2, 21, 1
	s_mov_b32 s10, 0x80fffff
	v_add3_u32 v3, v2, v3, s10
	v_lshrrev_b32_e32 v3, 21, v3
; %bb.200:
	s_andn2_saveexec_b64 s[8:9], s[8:9]
; %bb.201:
	s_mov_b32 s10, 0x43000000
	v_add_f32_e64 v3, |v2|, s10
; %bb.202:
	s_or_b64 exec, exec, s[8:9]
                                        ; implicit-def: $vgpr6
.LBB9_203:
	s_andn2_saveexec_b64 s[6:7], s[6:7]
; %bb.204:
	s_mov_b32 s8, 0x7f800000
	v_mov_b32_e32 v3, 0x7c
	v_mov_b32_e32 v7, 0x7f
	v_cmp_lt_u32_e32 vcc, s8, v6
	v_cndmask_b32_e32 v3, v3, v7, vcc
; %bb.205:
	s_or_b64 exec, exec, s[6:7]
	v_lshrrev_b32_e32 v2, 24, v2
	s_movk_i32 s6, 0x80
	v_and_or_b32 v2, v2, s6, v3
	global_store_byte v[4:5], v2, off
.LBB9_206:
	s_mov_b64 s[8:9], 0
	s_mov_b64 s[6:7], -1
.LBB9_207:
	s_andn2_b64 vcc, exec, s[8:9]
	s_cbranch_vccnz .LBB9_215
; %bb.208:
	v_mov_b32_e32 v2, 14
	v_cmp_gt_i16_sdwa s[10:11], v32, v2 src0_sel:BYTE_0 src1_sel:DWORD
	s_mov_b64 s[8:9], -1
	s_and_b64 vcc, exec, s[10:11]
	s_cbranch_vccz .LBB9_212
; %bb.209:
	v_mov_b32_e32 v2, 15
	v_cmp_eq_u16_sdwa s[8:9], v32, v2 src0_sel:BYTE_0 src1_sel:DWORD
	s_mov_b64 s[4:5], -1
	s_and_b64 vcc, exec, s[8:9]
	s_cbranch_vccz .LBB9_211
; %bb.210:
	v_cvt_f32_f64_e32 v2, v[0:1]
	v_bfe_u32 v3, v2, 16, 1
	s_movk_i32 s4, 0x7fff
	v_add3_u32 v3, v2, v3, s4
	v_lshrrev_b32_e32 v3, 16, v3
	v_mov_b32_e32 v6, 0x7fc0
	v_cmp_o_f32_e32 vcc, v2, v2
	v_cndmask_b32_e32 v2, v6, v3, vcc
	global_store_short v[4:5], v2, off
	s_mov_b64 s[6:7], -1
	s_mov_b64 s[4:5], 0
.LBB9_211:
	s_mov_b64 s[8:9], 0
.LBB9_212:
	s_and_b64 vcc, exec, s[8:9]
	s_cbranch_vccz .LBB9_215
; %bb.213:
	v_mov_b32_e32 v2, 11
	v_cmp_eq_u16_sdwa s[8:9], v32, v2 src0_sel:BYTE_0 src1_sel:DWORD
	s_mov_b64 s[4:5], -1
	s_and_b64 vcc, exec, s[8:9]
	s_cbranch_vccz .LBB9_215
; %bb.214:
	v_cmp_neq_f64_e32 vcc, 0, v[0:1]
	s_mov_b64 s[4:5], 0
	v_cndmask_b32_e64 v2, 0, 1, vcc
	s_mov_b64 s[6:7], -1
	global_store_byte v[4:5], v2, off
.LBB9_215:
	s_branch .LBB9_137
.LBB9_216:
	v_mov_b32_e32 v2, 5
	v_cmp_lt_i16_sdwa s[8:9], v32, v2 src0_sel:BYTE_0 src1_sel:DWORD
	s_mov_b64 s[6:7], -1
	s_and_b64 vcc, exec, s[8:9]
	s_cbranch_vccnz .LBB9_237
; %bb.217:
	v_mov_b32_e32 v2, 8
	v_cmp_lt_i16_sdwa s[8:9], v32, v2 src0_sel:BYTE_0 src1_sel:DWORD
	s_and_b64 vcc, exec, s[8:9]
	s_cbranch_vccnz .LBB9_227
; %bb.218:
	v_mov_b32_e32 v2, 9
	v_cmp_lt_i16_sdwa s[8:9], v32, v2 src0_sel:BYTE_0 src1_sel:DWORD
	s_and_b64 vcc, exec, s[8:9]
	s_cbranch_vccnz .LBB9_224
; %bb.219:
	v_cmp_gt_i16_sdwa s[8:9], v32, v2 src0_sel:BYTE_0 src1_sel:DWORD
	s_and_b64 vcc, exec, s[8:9]
	s_cbranch_vccz .LBB9_221
; %bb.220:
	v_mov_b32_e32 v2, 0
	v_mov_b32_e32 v3, v2
	s_mov_b64 s[6:7], 0
	global_store_dwordx4 v[4:5], v[0:3], off
.LBB9_221:
	s_andn2_b64 vcc, exec, s[6:7]
	s_cbranch_vccnz .LBB9_223
; %bb.222:
	v_cvt_f32_f64_e32 v2, v[0:1]
	v_mov_b32_e32 v3, 0
	global_store_dwordx2 v[4:5], v[2:3], off
.LBB9_223:
	s_mov_b64 s[6:7], 0
.LBB9_224:
	s_andn2_b64 vcc, exec, s[6:7]
	s_cbranch_vccnz .LBB9_226
; %bb.225:
	v_cvt_f32_f64_e32 v2, v[0:1]
	v_cvt_f16_f32_e32 v2, v2
	global_store_dword v[4:5], v2, off
.LBB9_226:
	s_mov_b64 s[6:7], 0
.LBB9_227:
	s_andn2_b64 vcc, exec, s[6:7]
	s_cbranch_vccnz .LBB9_236
; %bb.228:
	v_mov_b32_e32 v2, 6
	v_cmp_lt_i16_sdwa s[8:9], v32, v2 src0_sel:BYTE_0 src1_sel:DWORD
	s_mov_b64 s[6:7], -1
	s_and_b64 vcc, exec, s[8:9]
	s_cbranch_vccnz .LBB9_234
; %bb.229:
	v_cmp_gt_i16_sdwa s[8:9], v32, v2 src0_sel:BYTE_0 src1_sel:DWORD
	s_and_b64 vcc, exec, s[8:9]
	s_cbranch_vccz .LBB9_231
; %bb.230:
	s_mov_b64 s[6:7], 0
	global_store_dwordx2 v[4:5], v[0:1], off
.LBB9_231:
	s_andn2_b64 vcc, exec, s[6:7]
	s_cbranch_vccnz .LBB9_233
; %bb.232:
	v_cvt_f32_f64_e32 v2, v[0:1]
	global_store_dword v[4:5], v2, off
.LBB9_233:
	s_mov_b64 s[6:7], 0
.LBB9_234:
	s_andn2_b64 vcc, exec, s[6:7]
	s_cbranch_vccnz .LBB9_236
; %bb.235:
	v_cvt_f32_f64_e32 v2, v[0:1]
	v_cvt_f16_f32_e32 v2, v2
	global_store_short v[4:5], v2, off
.LBB9_236:
	s_mov_b64 s[6:7], 0
.LBB9_237:
	s_andn2_b64 vcc, exec, s[6:7]
	s_cbranch_vccnz .LBB9_253
; %bb.238:
	v_mov_b32_e32 v2, 2
	v_cmp_lt_i16_sdwa s[8:9], v32, v2 src0_sel:BYTE_0 src1_sel:DWORD
	s_mov_b64 s[6:7], -1
	s_and_b64 vcc, exec, s[8:9]
	s_cbranch_vccnz .LBB9_248
; %bb.239:
	v_mov_b32_e32 v2, 3
	v_cmp_lt_i16_sdwa s[8:9], v32, v2 src0_sel:BYTE_0 src1_sel:DWORD
	s_and_b64 vcc, exec, s[8:9]
	s_cbranch_vccnz .LBB9_245
; %bb.240:
	v_cmp_gt_i16_sdwa s[8:9], v32, v2 src0_sel:BYTE_0 src1_sel:DWORD
	s_and_b64 vcc, exec, s[8:9]
	s_cbranch_vccz .LBB9_242
; %bb.241:
	v_trunc_f64_e32 v[2:3], v[0:1]
	s_movk_i32 s6, 0xffe0
	v_ldexp_f64 v[6:7], v[2:3], s6
	v_floor_f64_e32 v[6:7], v[6:7]
	v_fmac_f64_e32 v[2:3], 0xc1f00000, v[6:7]
	v_cvt_i32_f64_e32 v9, v[6:7]
	v_cvt_u32_f64_e32 v8, v[2:3]
	s_mov_b64 s[6:7], 0
	global_store_dwordx2 v[4:5], v[8:9], off
.LBB9_242:
	s_andn2_b64 vcc, exec, s[6:7]
	s_cbranch_vccnz .LBB9_244
; %bb.243:
	v_cvt_i32_f64_e32 v2, v[0:1]
	global_store_dword v[4:5], v2, off
.LBB9_244:
	s_mov_b64 s[6:7], 0
.LBB9_245:
	s_andn2_b64 vcc, exec, s[6:7]
	s_cbranch_vccnz .LBB9_247
; %bb.246:
	v_cvt_i32_f64_e32 v2, v[0:1]
	global_store_short v[4:5], v2, off
.LBB9_247:
	s_mov_b64 s[6:7], 0
.LBB9_248:
	s_andn2_b64 vcc, exec, s[6:7]
	s_cbranch_vccnz .LBB9_253
; %bb.249:
	v_mov_b32_e32 v2, 0
	v_cmp_gt_i16_sdwa s[8:9], v32, v2 src0_sel:BYTE_0 src1_sel:DWORD
	s_mov_b64 s[6:7], -1
	s_and_b64 vcc, exec, s[8:9]
	s_cbranch_vccz .LBB9_251
; %bb.250:
	v_cvt_i32_f64_e32 v2, v[0:1]
	s_mov_b64 s[6:7], 0
	global_store_byte v[4:5], v2, off
.LBB9_251:
	s_andn2_b64 vcc, exec, s[6:7]
	s_cbranch_vccnz .LBB9_253
; %bb.252:
	v_trunc_f64_e32 v[0:1], v[0:1]
	s_movk_i32 s6, 0xffe0
	v_ldexp_f64 v[2:3], v[0:1], s6
	v_floor_f64_e32 v[2:3], v[2:3]
	v_fmac_f64_e32 v[0:1], 0xc1f00000, v[2:3]
	v_cvt_u32_f64_e32 v0, v[0:1]
	global_store_byte v[4:5], v0, off
.LBB9_253:
	s_branch .LBB9_138
.LBB9_254:
	s_mov_b64 s[6:7], 0
                                        ; implicit-def: $vgpr23
.LBB9_255:
	s_andn2_b64 s[8:9], s[42:43], exec
	s_and_b64 s[4:5], s[4:5], exec
	s_or_b64 s[46:47], s[8:9], s[4:5]
	s_orn2_b64 s[8:9], s[6:7], exec
.LBB9_256:
	s_or_b64 exec, exec, s[48:49]
	s_mov_b64 s[4:5], 0
	s_mov_b64 s[6:7], 0
                                        ; implicit-def: $vgpr6
                                        ; implicit-def: $vgpr4_vgpr5
                                        ; implicit-def: $vgpr0_vgpr1
	s_and_saveexec_b64 s[48:49], s[8:9]
	s_cbranch_execz .LBB9_467
; %bb.257:
	v_cmp_gt_i32_e32 vcc, s33, v23
	s_mov_b64 s[6:7], -1
	s_mov_b64 s[52:53], s[46:47]
	s_and_saveexec_b64 s[50:51], vcc
	s_cbranch_execz .LBB9_386
; %bb.258:
	v_mov_b32_e32 v0, s38
	v_mov_b32_e32 v1, s39
	;; [unrolled: 1-line block ×5, first 2 shown]
	s_getpc_b64 s[4:5]
	s_add_u32 s4, s4, _ZN2at6native6invokeIZZZNS0_12_GLOBAL__N_137scaled_modified_bessel_k0_kernel_cudaERNS_18TensorIteratorBaseEENKUlvE_clEvENKUlvE_clEvEUldE_i15function_traitsIS7_EEENT1_11result_typeERKT_PrKPcPKT0_PKN3c1010ScalarTypeEi@rel32@lo+4
	s_addc_u32 s5, s5, _ZN2at6native6invokeIZZZNS0_12_GLOBAL__N_137scaled_modified_bessel_k0_kernel_cudaERNS_18TensorIteratorBaseEENKUlvE_clEvENKUlvE_clEvEUldE_i15function_traitsIS7_EEENT1_11result_typeERKT_PrKPcPKT0_PKN3c1010ScalarTypeEi@rel32@hi+12
	s_swappc_b64 s[30:31], s[4:5]
	v_mul_lo_u32 v2, v23, s28
	v_ashrrev_i32_e32 v3, 31, v2
	v_mov_b32_e32 v5, s37
	v_add_co_u32_e32 v4, vcc, s36, v2
	v_mov_b32_e32 v2, 11
	v_addc_co_u32_e32 v5, vcc, v5, v3, vcc
	v_cmp_lt_i16_sdwa s[4:5], v32, v2 src0_sel:BYTE_0 src1_sel:DWORD
	s_and_b64 vcc, exec, s[4:5]
	s_cbranch_vccnz .LBB9_265
; %bb.259:
	v_mov_b32_e32 v2, 25
	v_cmp_gt_i16_sdwa s[4:5], v32, v2 src0_sel:BYTE_0 src1_sel:DWORD
	s_and_b64 vcc, exec, s[4:5]
	s_cbranch_vccz .LBB9_266
; %bb.260:
	v_mov_b32_e32 v2, 28
	v_cmp_gt_i16_sdwa s[4:5], v32, v2 src0_sel:BYTE_0 src1_sel:DWORD
	s_and_b64 vcc, exec, s[4:5]
	s_cbranch_vccz .LBB9_267
	;; [unrolled: 5-line block ×4, first 2 shown]
; %bb.263:
	v_mov_b32_e32 v2, 46
	v_cmp_eq_u16_sdwa s[6:7], v32, v2 src0_sel:BYTE_0 src1_sel:DWORD
	s_mov_b64 s[8:9], 0
	s_mov_b64 s[4:5], -1
	s_and_b64 vcc, exec, s[6:7]
	s_mov_b64 s[6:7], 0
	s_cbranch_vccz .LBB9_274
; %bb.264:
	v_cvt_f32_f64_e32 v2, v[0:1]
	v_bfe_u32 v3, v2, 16, 1
	s_movk_i32 s4, 0x7fff
	v_add3_u32 v3, v2, v3, s4
	v_lshrrev_b32_e32 v3, 16, v3
	v_mov_b32_e32 v6, 0x7fc0
	v_cmp_o_f32_e32 vcc, v2, v2
	v_cndmask_b32_e32 v2, v6, v3, vcc
	global_store_dword v[4:5], v2, off
	s_mov_b64 s[6:7], -1
	s_mov_b64 s[4:5], 0
	s_branch .LBB9_274
.LBB9_265:
	s_mov_b64 s[8:9], -1
	s_mov_b64 s[6:7], 0
	s_mov_b64 s[4:5], s[46:47]
	s_branch .LBB9_343
.LBB9_266:
	s_mov_b64 s[8:9], -1
	s_mov_b64 s[6:7], 0
	s_mov_b64 s[4:5], s[46:47]
	s_branch .LBB9_301
.LBB9_267:
	s_mov_b64 s[8:9], -1
	s_mov_b64 s[6:7], 0
	s_mov_b64 s[4:5], s[46:47]
	s_branch .LBB9_284
.LBB9_268:
	s_or_saveexec_b64 s[10:11], s[10:11]
                                        ; implicit-def: $sgpr12
	s_xor_b64 exec, exec, s[10:11]
	s_cbranch_execz .LBB9_168
.LBB9_269:
	s_mov_b32 s12, 0x46000000
	v_add_f32_e64 v3, |v2|, s12
	v_and_b32_e32 v3, 0xff, v3
	v_cmp_ne_u32_e32 vcc, 0, v3
	s_andn2_b64 s[8:9], s[8:9], exec
	s_and_b64 s[14:15], vcc, exec
	s_mov_b32 s12, 0
	s_or_b64 s[8:9], s[8:9], s[14:15]
	s_or_b64 exec, exec, s[10:11]
	v_mov_b32_e32 v6, s12
	s_and_saveexec_b64 s[10:11], s[8:9]
	s_cbranch_execnz .LBB9_169
	s_branch .LBB9_170
.LBB9_270:
	s_mov_b64 s[8:9], -1
	s_mov_b64 s[6:7], 0
	s_mov_b64 s[4:5], s[46:47]
	s_branch .LBB9_280
.LBB9_271:
	s_or_saveexec_b64 s[10:11], s[10:11]
                                        ; implicit-def: $sgpr12
	s_xor_b64 exec, exec, s[10:11]
	s_cbranch_execz .LBB9_181
.LBB9_272:
	s_mov_b32 s12, 0x42800000
	v_add_f32_e64 v3, |v2|, s12
	v_and_b32_e32 v3, 0xff, v3
	v_cmp_ne_u32_e32 vcc, 0, v3
	s_andn2_b64 s[8:9], s[8:9], exec
	s_and_b64 s[14:15], vcc, exec
	s_mov_b32 s12, 0
	s_or_b64 s[8:9], s[8:9], s[14:15]
	s_or_b64 exec, exec, s[10:11]
	v_mov_b32_e32 v6, s12
	s_and_saveexec_b64 s[10:11], s[8:9]
	s_cbranch_execnz .LBB9_182
	s_branch .LBB9_183
.LBB9_273:
	s_mov_b64 s[8:9], -1
	s_mov_b64 s[6:7], 0
	s_mov_b64 s[4:5], s[46:47]
.LBB9_274:
	s_and_b64 vcc, exec, s[8:9]
	s_cbranch_vccz .LBB9_279
; %bb.275:
	v_mov_b32_e32 v2, 44
	v_cmp_eq_u16_sdwa s[8:9], v32, v2 src0_sel:BYTE_0 src1_sel:DWORD
	s_mov_b64 s[4:5], -1
	s_and_b64 vcc, exec, s[8:9]
	s_cbranch_vccz .LBB9_279
; %bb.276:
	v_cvt_f32_f64_e32 v2, v[0:1]
	v_bfe_u32 v3, v2, 23, 8
	s_movk_i32 s4, 0xff
	v_cmp_ne_u32_e32 vcc, s4, v3
	v_mov_b32_e32 v6, 0xff
	s_and_saveexec_b64 s[6:7], vcc
; %bb.277:
	s_mov_b32 s4, 0x3fffff
	v_lshrrev_b32_e32 v6, 23, v2
	v_and_b32_e32 v7, 0x400000, v2
	v_and_or_b32 v2, v2, s4, v3
	v_cmp_ne_u32_e32 vcc, 0, v7
	v_cmp_ne_u32_e64 s[4:5], 0, v2
	s_and_b64 s[4:5], vcc, s[4:5]
	v_cndmask_b32_e64 v2, 0, 1, s[4:5]
	v_add_u32_e32 v6, v6, v2
; %bb.278:
	s_or_b64 exec, exec, s[6:7]
	s_mov_b64 s[6:7], -1
	s_mov_b64 s[4:5], 0
	global_store_byte v[4:5], v6, off
.LBB9_279:
	s_mov_b64 s[8:9], 0
.LBB9_280:
	s_and_b64 vcc, exec, s[8:9]
	s_cbranch_vccz .LBB9_283
; %bb.281:
	v_mov_b32_e32 v2, 29
	v_cmp_eq_u16_sdwa s[8:9], v32, v2 src0_sel:BYTE_0 src1_sel:DWORD
	s_mov_b64 s[4:5], -1
	s_and_b64 vcc, exec, s[8:9]
	s_cbranch_vccz .LBB9_283
; %bb.282:
	v_trunc_f64_e32 v[2:3], v[0:1]
	s_movk_i32 s4, 0xffe0
	v_ldexp_f64 v[6:7], v[2:3], s4
	v_floor_f64_e32 v[6:7], v[6:7]
	v_fmac_f64_e32 v[2:3], 0xc1f00000, v[6:7]
	v_cvt_u32_f64_e32 v9, v[6:7]
	v_cvt_u32_f64_e32 v8, v[2:3]
	global_store_dwordx2 v[4:5], v[8:9], off
	s_mov_b64 s[6:7], -1
	s_mov_b64 s[4:5], 0
.LBB9_283:
	s_mov_b64 s[8:9], 0
.LBB9_284:
	s_and_b64 vcc, exec, s[8:9]
	s_cbranch_vccz .LBB9_300
; %bb.285:
	v_mov_b32_e32 v2, 27
	v_cmp_lt_i16_sdwa s[8:9], v32, v2 src0_sel:BYTE_0 src1_sel:DWORD
	s_mov_b64 s[6:7], -1
	s_and_b64 vcc, exec, s[8:9]
	s_cbranch_vccnz .LBB9_291
; %bb.286:
	v_cmp_gt_i16_sdwa s[8:9], v32, v2 src0_sel:BYTE_0 src1_sel:DWORD
	s_and_b64 vcc, exec, s[8:9]
	v_cvt_u32_f64_e32 v2, v[0:1]
	s_cbranch_vccz .LBB9_288
; %bb.287:
	s_mov_b64 s[6:7], 0
	global_store_dword v[4:5], v2, off
.LBB9_288:
	s_andn2_b64 vcc, exec, s[6:7]
	s_cbranch_vccnz .LBB9_290
; %bb.289:
	global_store_short v[4:5], v2, off
.LBB9_290:
	s_mov_b64 s[6:7], 0
.LBB9_291:
	s_andn2_b64 vcc, exec, s[6:7]
	s_cbranch_vccnz .LBB9_299
; %bb.292:
	v_cvt_f32_f64_e32 v2, v[0:1]
	v_and_b32_e32 v3, 0x7fffffff, v2
	s_mov_b32 s6, 0x43800000
	v_cmp_gt_u32_e32 vcc, s6, v3
	v_mov_b32_e32 v6, 0x80
	s_and_saveexec_b64 s[6:7], vcc
	s_cbranch_execz .LBB9_298
; %bb.293:
	s_mov_b32 s8, 0x3bffffff
	v_cmp_lt_u32_e32 vcc, s8, v3
	s_mov_b64 s[8:9], 0
                                        ; implicit-def: $vgpr3
	s_and_saveexec_b64 s[10:11], vcc
	s_xor_b64 s[10:11], exec, s[10:11]
	s_cbranch_execz .LBB9_1005
; %bb.294:
	v_bfe_u32 v3, v2, 20, 1
	s_mov_b32 s12, 0x487ffff
	v_add3_u32 v3, v2, v3, s12
	s_mov_b64 s[8:9], exec
	v_lshrrev_b32_e32 v3, 20, v3
	s_or_saveexec_b64 s[10:11], s[10:11]
                                        ; implicit-def: $sgpr12
	s_xor_b64 exec, exec, s[10:11]
	s_cbranch_execnz .LBB9_1006
.LBB9_295:
	s_or_b64 exec, exec, s[10:11]
	v_mov_b32_e32 v6, s12
	s_and_saveexec_b64 s[10:11], s[8:9]
.LBB9_296:
	v_lshrrev_b32_e32 v2, 24, v2
	s_movk_i32 s8, 0x80
	v_and_or_b32 v6, v2, s8, v3
.LBB9_297:
	s_or_b64 exec, exec, s[10:11]
.LBB9_298:
	s_or_b64 exec, exec, s[6:7]
	global_store_byte v[4:5], v6, off
.LBB9_299:
	s_mov_b64 s[6:7], -1
.LBB9_300:
	s_mov_b64 s[8:9], 0
.LBB9_301:
	s_and_b64 vcc, exec, s[8:9]
	s_cbranch_vccz .LBB9_342
; %bb.302:
	v_mov_b32_e32 v2, 22
	v_cmp_gt_i16_sdwa s[10:11], v32, v2 src0_sel:BYTE_0 src1_sel:DWORD
	s_mov_b64 s[8:9], -1
	s_and_b64 vcc, exec, s[10:11]
	s_cbranch_vccz .LBB9_334
; %bb.303:
	v_mov_b32_e32 v2, 24
	v_cmp_lt_i16_sdwa s[8:9], v32, v2 src0_sel:BYTE_0 src1_sel:DWORD
	s_mov_b64 s[6:7], -1
	s_and_b64 vcc, exec, s[8:9]
	s_cbranch_vccnz .LBB9_323
; %bb.304:
	v_cmp_gt_i16_sdwa s[8:9], v32, v2 src0_sel:BYTE_0 src1_sel:DWORD
	s_and_b64 vcc, exec, s[8:9]
	s_cbranch_vccz .LBB9_312
; %bb.305:
	v_cvt_f32_f64_e32 v2, v[0:1]
	v_and_b32_e32 v3, 0x7fffffff, v2
	s_mov_b32 s6, 0x47800000
	v_cmp_gt_u32_e32 vcc, s6, v3
	v_mov_b32_e32 v6, 0x80
	s_and_saveexec_b64 s[6:7], vcc
	s_cbranch_execz .LBB9_311
; %bb.306:
	s_mov_b32 s8, 0x37ffffff
	v_cmp_lt_u32_e32 vcc, s8, v3
	s_mov_b64 s[8:9], 0
                                        ; implicit-def: $vgpr3
	s_and_saveexec_b64 s[10:11], vcc
	s_xor_b64 s[10:11], exec, s[10:11]
	s_cbranch_execz .LBB9_1012
; %bb.307:
	v_bfe_u32 v3, v2, 21, 1
	s_mov_b32 s12, 0x88fffff
	v_add3_u32 v3, v2, v3, s12
	s_mov_b64 s[8:9], exec
	v_lshrrev_b32_e32 v3, 21, v3
	s_or_saveexec_b64 s[10:11], s[10:11]
                                        ; implicit-def: $sgpr12
	s_xor_b64 exec, exec, s[10:11]
	s_cbranch_execnz .LBB9_1013
.LBB9_308:
	s_or_b64 exec, exec, s[10:11]
	v_mov_b32_e32 v6, s12
	s_and_saveexec_b64 s[10:11], s[8:9]
.LBB9_309:
	v_lshrrev_b32_e32 v2, 24, v2
	s_movk_i32 s8, 0x80
	v_and_or_b32 v6, v2, s8, v3
.LBB9_310:
	s_or_b64 exec, exec, s[10:11]
.LBB9_311:
	s_or_b64 exec, exec, s[6:7]
	s_mov_b64 s[6:7], 0
	global_store_byte v[4:5], v6, off
.LBB9_312:
	s_and_b64 vcc, exec, s[6:7]
	s_cbranch_vccz .LBB9_322
; %bb.313:
	v_cvt_f32_f64_e32 v2, v[0:1]
	v_and_b32_e32 v6, 0x7fffffff, v2
	s_mov_b32 s6, 0x43f00000
	v_cmp_gt_u32_e32 vcc, s6, v6
                                        ; implicit-def: $vgpr3
	s_and_saveexec_b64 s[6:7], vcc
	s_xor_b64 s[6:7], exec, s[6:7]
	s_cbranch_execz .LBB9_319
; %bb.314:
	s_mov_b32 s8, 0x3c7fffff
	v_cmp_lt_u32_e32 vcc, s8, v6
                                        ; implicit-def: $vgpr3
	s_and_saveexec_b64 s[8:9], vcc
	s_xor_b64 s[8:9], exec, s[8:9]
; %bb.315:
	v_bfe_u32 v3, v2, 20, 1
	s_mov_b32 s10, 0x407ffff
	v_add3_u32 v3, v2, v3, s10
	v_lshrrev_b32_e32 v6, 20, v3
	v_and_b32_e32 v3, 0xff00000, v3
	s_mov_b32 s10, 0x7f00000
	v_mov_b32_e32 v7, 0x7e
	v_cmp_ne_u32_e32 vcc, s10, v3
	v_cndmask_b32_e32 v3, v7, v6, vcc
; %bb.316:
	s_andn2_saveexec_b64 s[8:9], s[8:9]
; %bb.317:
	s_mov_b32 s10, 0x46800000
	v_add_f32_e64 v3, |v2|, s10
; %bb.318:
	s_or_b64 exec, exec, s[8:9]
                                        ; implicit-def: $vgpr6
.LBB9_319:
	s_andn2_saveexec_b64 s[6:7], s[6:7]
; %bb.320:
	s_mov_b32 s8, 0x7f800000
	v_mov_b32_e32 v3, 0x7e
	v_mov_b32_e32 v7, 0x7f
	v_cmp_lt_u32_e32 vcc, s8, v6
	v_cndmask_b32_e32 v3, v3, v7, vcc
; %bb.321:
	s_or_b64 exec, exec, s[6:7]
	v_lshrrev_b32_e32 v2, 24, v2
	s_movk_i32 s6, 0x80
	v_and_or_b32 v2, v2, s6, v3
	global_store_byte v[4:5], v2, off
.LBB9_322:
	s_mov_b64 s[6:7], 0
.LBB9_323:
	s_andn2_b64 vcc, exec, s[6:7]
	s_cbranch_vccnz .LBB9_333
; %bb.324:
	v_cvt_f32_f64_e32 v2, v[0:1]
	v_and_b32_e32 v6, 0x7fffffff, v2
	s_mov_b32 s6, 0x47800000
	v_cmp_gt_u32_e32 vcc, s6, v6
                                        ; implicit-def: $vgpr3
	s_and_saveexec_b64 s[6:7], vcc
	s_xor_b64 s[6:7], exec, s[6:7]
	s_cbranch_execz .LBB9_330
; %bb.325:
	s_mov_b32 s8, 0x387fffff
	v_cmp_lt_u32_e32 vcc, s8, v6
                                        ; implicit-def: $vgpr3
	s_and_saveexec_b64 s[8:9], vcc
	s_xor_b64 s[8:9], exec, s[8:9]
; %bb.326:
	v_bfe_u32 v3, v2, 21, 1
	s_mov_b32 s10, 0x80fffff
	v_add3_u32 v3, v2, v3, s10
	v_lshrrev_b32_e32 v3, 21, v3
; %bb.327:
	s_andn2_saveexec_b64 s[8:9], s[8:9]
; %bb.328:
	s_mov_b32 s10, 0x43000000
	v_add_f32_e64 v3, |v2|, s10
; %bb.329:
	s_or_b64 exec, exec, s[8:9]
                                        ; implicit-def: $vgpr6
.LBB9_330:
	s_andn2_saveexec_b64 s[6:7], s[6:7]
; %bb.331:
	s_mov_b32 s8, 0x7f800000
	v_mov_b32_e32 v3, 0x7c
	v_mov_b32_e32 v7, 0x7f
	v_cmp_lt_u32_e32 vcc, s8, v6
	v_cndmask_b32_e32 v3, v3, v7, vcc
; %bb.332:
	s_or_b64 exec, exec, s[6:7]
	v_lshrrev_b32_e32 v2, 24, v2
	s_movk_i32 s6, 0x80
	v_and_or_b32 v2, v2, s6, v3
	global_store_byte v[4:5], v2, off
.LBB9_333:
	s_mov_b64 s[8:9], 0
	s_mov_b64 s[6:7], -1
.LBB9_334:
	s_andn2_b64 vcc, exec, s[8:9]
	s_cbranch_vccnz .LBB9_342
; %bb.335:
	v_mov_b32_e32 v2, 14
	v_cmp_gt_i16_sdwa s[10:11], v32, v2 src0_sel:BYTE_0 src1_sel:DWORD
	s_mov_b64 s[8:9], -1
	s_and_b64 vcc, exec, s[10:11]
	s_cbranch_vccz .LBB9_339
; %bb.336:
	v_mov_b32_e32 v2, 15
	v_cmp_eq_u16_sdwa s[8:9], v32, v2 src0_sel:BYTE_0 src1_sel:DWORD
	s_mov_b64 s[4:5], -1
	s_and_b64 vcc, exec, s[8:9]
	s_cbranch_vccz .LBB9_338
; %bb.337:
	v_cvt_f32_f64_e32 v2, v[0:1]
	v_bfe_u32 v3, v2, 16, 1
	s_movk_i32 s4, 0x7fff
	v_add3_u32 v3, v2, v3, s4
	v_lshrrev_b32_e32 v3, 16, v3
	v_mov_b32_e32 v6, 0x7fc0
	v_cmp_o_f32_e32 vcc, v2, v2
	v_cndmask_b32_e32 v2, v6, v3, vcc
	global_store_short v[4:5], v2, off
	s_mov_b64 s[6:7], -1
	s_mov_b64 s[4:5], 0
.LBB9_338:
	s_mov_b64 s[8:9], 0
.LBB9_339:
	s_and_b64 vcc, exec, s[8:9]
	s_cbranch_vccz .LBB9_342
; %bb.340:
	v_mov_b32_e32 v2, 11
	v_cmp_eq_u16_sdwa s[8:9], v32, v2 src0_sel:BYTE_0 src1_sel:DWORD
	s_mov_b64 s[4:5], -1
	s_and_b64 vcc, exec, s[8:9]
	s_cbranch_vccz .LBB9_342
; %bb.341:
	v_cmp_neq_f64_e32 vcc, 0, v[0:1]
	s_mov_b64 s[4:5], 0
	v_cndmask_b32_e64 v2, 0, 1, vcc
	s_mov_b64 s[6:7], -1
	global_store_byte v[4:5], v2, off
.LBB9_342:
	s_mov_b64 s[8:9], 0
.LBB9_343:
	s_and_b64 vcc, exec, s[8:9]
	s_cbranch_vccz .LBB9_382
; %bb.344:
	v_mov_b32_e32 v2, 5
	v_cmp_lt_i16_sdwa s[8:9], v32, v2 src0_sel:BYTE_0 src1_sel:DWORD
	s_mov_b64 s[6:7], -1
	s_and_b64 vcc, exec, s[8:9]
	s_cbranch_vccnz .LBB9_365
; %bb.345:
	v_mov_b32_e32 v2, 8
	v_cmp_lt_i16_sdwa s[8:9], v32, v2 src0_sel:BYTE_0 src1_sel:DWORD
	s_and_b64 vcc, exec, s[8:9]
	s_cbranch_vccnz .LBB9_355
; %bb.346:
	v_mov_b32_e32 v2, 9
	v_cmp_lt_i16_sdwa s[8:9], v32, v2 src0_sel:BYTE_0 src1_sel:DWORD
	s_and_b64 vcc, exec, s[8:9]
	s_cbranch_vccnz .LBB9_352
; %bb.347:
	v_cmp_gt_i16_sdwa s[8:9], v32, v2 src0_sel:BYTE_0 src1_sel:DWORD
	s_and_b64 vcc, exec, s[8:9]
	s_cbranch_vccz .LBB9_349
; %bb.348:
	v_mov_b32_e32 v2, 0
	v_mov_b32_e32 v3, v2
	s_mov_b64 s[6:7], 0
	global_store_dwordx4 v[4:5], v[0:3], off
.LBB9_349:
	s_andn2_b64 vcc, exec, s[6:7]
	s_cbranch_vccnz .LBB9_351
; %bb.350:
	v_cvt_f32_f64_e32 v2, v[0:1]
	v_mov_b32_e32 v3, 0
	global_store_dwordx2 v[4:5], v[2:3], off
.LBB9_351:
	s_mov_b64 s[6:7], 0
.LBB9_352:
	s_andn2_b64 vcc, exec, s[6:7]
	s_cbranch_vccnz .LBB9_354
; %bb.353:
	v_cvt_f32_f64_e32 v2, v[0:1]
	v_cvt_f16_f32_e32 v2, v2
	global_store_dword v[4:5], v2, off
.LBB9_354:
	s_mov_b64 s[6:7], 0
.LBB9_355:
	s_andn2_b64 vcc, exec, s[6:7]
	s_cbranch_vccnz .LBB9_364
; %bb.356:
	v_mov_b32_e32 v2, 6
	v_cmp_lt_i16_sdwa s[8:9], v32, v2 src0_sel:BYTE_0 src1_sel:DWORD
	s_mov_b64 s[6:7], -1
	s_and_b64 vcc, exec, s[8:9]
	s_cbranch_vccnz .LBB9_362
; %bb.357:
	v_cmp_gt_i16_sdwa s[8:9], v32, v2 src0_sel:BYTE_0 src1_sel:DWORD
	s_and_b64 vcc, exec, s[8:9]
	s_cbranch_vccz .LBB9_359
; %bb.358:
	s_mov_b64 s[6:7], 0
	global_store_dwordx2 v[4:5], v[0:1], off
.LBB9_359:
	s_andn2_b64 vcc, exec, s[6:7]
	s_cbranch_vccnz .LBB9_361
; %bb.360:
	v_cvt_f32_f64_e32 v2, v[0:1]
	global_store_dword v[4:5], v2, off
.LBB9_361:
	s_mov_b64 s[6:7], 0
.LBB9_362:
	s_andn2_b64 vcc, exec, s[6:7]
	s_cbranch_vccnz .LBB9_364
; %bb.363:
	v_cvt_f32_f64_e32 v2, v[0:1]
	v_cvt_f16_f32_e32 v2, v2
	global_store_short v[4:5], v2, off
.LBB9_364:
	s_mov_b64 s[6:7], 0
.LBB9_365:
	s_andn2_b64 vcc, exec, s[6:7]
	s_cbranch_vccnz .LBB9_381
; %bb.366:
	v_mov_b32_e32 v2, 2
	v_cmp_lt_i16_sdwa s[8:9], v32, v2 src0_sel:BYTE_0 src1_sel:DWORD
	s_mov_b64 s[6:7], -1
	s_and_b64 vcc, exec, s[8:9]
	s_cbranch_vccnz .LBB9_376
; %bb.367:
	v_mov_b32_e32 v2, 3
	v_cmp_lt_i16_sdwa s[8:9], v32, v2 src0_sel:BYTE_0 src1_sel:DWORD
	s_and_b64 vcc, exec, s[8:9]
	s_cbranch_vccnz .LBB9_373
; %bb.368:
	v_cmp_gt_i16_sdwa s[8:9], v32, v2 src0_sel:BYTE_0 src1_sel:DWORD
	s_and_b64 vcc, exec, s[8:9]
	s_cbranch_vccz .LBB9_370
; %bb.369:
	v_trunc_f64_e32 v[2:3], v[0:1]
	s_movk_i32 s6, 0xffe0
	v_ldexp_f64 v[6:7], v[2:3], s6
	v_floor_f64_e32 v[6:7], v[6:7]
	v_fmac_f64_e32 v[2:3], 0xc1f00000, v[6:7]
	v_cvt_i32_f64_e32 v9, v[6:7]
	v_cvt_u32_f64_e32 v8, v[2:3]
	s_mov_b64 s[6:7], 0
	global_store_dwordx2 v[4:5], v[8:9], off
.LBB9_370:
	s_andn2_b64 vcc, exec, s[6:7]
	s_cbranch_vccnz .LBB9_372
; %bb.371:
	v_cvt_i32_f64_e32 v2, v[0:1]
	global_store_dword v[4:5], v2, off
.LBB9_372:
	s_mov_b64 s[6:7], 0
.LBB9_373:
	s_andn2_b64 vcc, exec, s[6:7]
	s_cbranch_vccnz .LBB9_375
; %bb.374:
	v_cvt_i32_f64_e32 v2, v[0:1]
	global_store_short v[4:5], v2, off
.LBB9_375:
	s_mov_b64 s[6:7], 0
.LBB9_376:
	s_andn2_b64 vcc, exec, s[6:7]
	s_cbranch_vccnz .LBB9_381
; %bb.377:
	v_mov_b32_e32 v2, 0
	v_cmp_gt_i16_sdwa s[8:9], v32, v2 src0_sel:BYTE_0 src1_sel:DWORD
	s_mov_b64 s[6:7], -1
	s_and_b64 vcc, exec, s[8:9]
	s_cbranch_vccz .LBB9_379
; %bb.378:
	v_cvt_i32_f64_e32 v2, v[0:1]
	s_mov_b64 s[6:7], 0
	global_store_byte v[4:5], v2, off
.LBB9_379:
	s_andn2_b64 vcc, exec, s[6:7]
	s_cbranch_vccnz .LBB9_381
; %bb.380:
	v_trunc_f64_e32 v[0:1], v[0:1]
	s_movk_i32 s6, 0xffe0
	v_ldexp_f64 v[2:3], v[0:1], s6
	v_floor_f64_e32 v[2:3], v[2:3]
	v_fmac_f64_e32 v[0:1], 0xc1f00000, v[2:3]
	v_cvt_u32_f64_e32 v0, v[0:1]
	global_store_byte v[4:5], v0, off
.LBB9_381:
	s_mov_b64 s[6:7], -1
.LBB9_382:
	s_andn2_b64 vcc, exec, s[6:7]
	s_cbranch_vccnz .LBB9_384
; %bb.383:
	v_add_u32_e32 v23, 0x80, v23
	s_mov_b64 s[6:7], -1
	s_branch .LBB9_385
.LBB9_384:
	s_mov_b64 s[6:7], 0
                                        ; implicit-def: $vgpr23
.LBB9_385:
	s_andn2_b64 s[8:9], s[46:47], exec
	s_and_b64 s[4:5], s[4:5], exec
	s_or_b64 s[52:53], s[8:9], s[4:5]
	s_orn2_b64 s[6:7], s[6:7], exec
.LBB9_386:
	s_or_b64 exec, exec, s[50:51]
	s_mov_b64 s[4:5], 0
	s_mov_b64 s[10:11], 0
                                        ; implicit-def: $vgpr6
                                        ; implicit-def: $vgpr4_vgpr5
                                        ; implicit-def: $vgpr0_vgpr1
	s_and_saveexec_b64 s[50:51], s[6:7]
	s_cbranch_execz .LBB9_466
; %bb.387:
	v_cmp_gt_i32_e32 vcc, s33, v23
	s_mov_b64 s[6:7], 0
	s_mov_b64 s[8:9], s[52:53]
                                        ; implicit-def: $vgpr6
                                        ; implicit-def: $vgpr4_vgpr5
                                        ; implicit-def: $vgpr0_vgpr1
	s_and_saveexec_b64 s[54:55], vcc
	s_cbranch_execz .LBB9_465
; %bb.388:
	v_mov_b32_e32 v0, s38
	v_mov_b32_e32 v1, s39
	;; [unrolled: 1-line block ×5, first 2 shown]
	s_getpc_b64 s[4:5]
	s_add_u32 s4, s4, _ZN2at6native6invokeIZZZNS0_12_GLOBAL__N_137scaled_modified_bessel_k0_kernel_cudaERNS_18TensorIteratorBaseEENKUlvE_clEvENKUlvE_clEvEUldE_i15function_traitsIS7_EEENT1_11result_typeERKT_PrKPcPKT0_PKN3c1010ScalarTypeEi@rel32@lo+4
	s_addc_u32 s5, s5, _ZN2at6native6invokeIZZZNS0_12_GLOBAL__N_137scaled_modified_bessel_k0_kernel_cudaERNS_18TensorIteratorBaseEENKUlvE_clEvENKUlvE_clEvEUldE_i15function_traitsIS7_EEENT1_11result_typeERKT_PrKPcPKT0_PKN3c1010ScalarTypeEi@rel32@hi+12
	s_swappc_b64 s[30:31], s[4:5]
	v_mul_lo_u32 v2, v23, s28
	v_ashrrev_i32_e32 v3, 31, v2
	v_mov_b32_e32 v5, s37
	v_add_co_u32_e32 v4, vcc, s36, v2
	v_addc_co_u32_e32 v5, vcc, v5, v3, vcc
	v_and_b32_e32 v6, 0xff, v32
	v_cmp_gt_i16_e32 vcc, 11, v6
	s_cbranch_vccnz .LBB9_462
; %bb.389:
	v_cmp_lt_i16_e32 vcc, 25, v6
	s_mov_b64 s[8:9], -1
	s_mov_b64 s[4:5], s[52:53]
	s_cbranch_vccz .LBB9_422
; %bb.390:
	v_cmp_lt_i16_e32 vcc, 28, v6
	s_mov_b64 s[6:7], -1
	s_mov_b64 s[4:5], s[52:53]
	s_cbranch_vccz .LBB9_406
; %bb.391:
	v_cmp_lt_i16_e32 vcc, 43, v6
	s_mov_b64 s[4:5], s[52:53]
	s_cbranch_vccz .LBB9_402
; %bb.392:
	v_cmp_lt_i16_e32 vcc, 45, v6
	s_mov_b64 s[4:5], s[52:53]
	s_cbranch_vccz .LBB9_396
; %bb.393:
	v_cmp_eq_u16_e32 vcc, 46, v6
	s_mov_b64 s[4:5], -1
	s_cbranch_vccz .LBB9_395
; %bb.394:
	v_cvt_f32_f64_e32 v2, v[0:1]
	v_bfe_u32 v3, v2, 16, 1
	s_movk_i32 s4, 0x7fff
	v_add3_u32 v3, v2, v3, s4
	v_lshrrev_b32_e32 v3, 16, v3
	v_mov_b32_e32 v7, 0x7fc0
	v_cmp_o_f32_e32 vcc, v2, v2
	v_cndmask_b32_e32 v2, v7, v3, vcc
	global_store_dword v[4:5], v2, off
	s_mov_b64 s[4:5], 0
.LBB9_395:
	s_mov_b64 s[6:7], 0
.LBB9_396:
	s_and_b64 vcc, exec, s[6:7]
	s_cbranch_vccz .LBB9_401
; %bb.397:
	v_cmp_eq_u16_e32 vcc, 44, v6
	s_mov_b64 s[4:5], -1
	s_cbranch_vccz .LBB9_401
; %bb.398:
	v_cvt_f32_f64_e32 v2, v[0:1]
	v_bfe_u32 v3, v2, 23, 8
	s_movk_i32 s4, 0xff
	v_cmp_ne_u32_e32 vcc, s4, v3
	v_mov_b32_e32 v7, 0xff
	s_and_saveexec_b64 s[6:7], vcc
; %bb.399:
	s_mov_b32 s4, 0x3fffff
	v_lshrrev_b32_e32 v7, 23, v2
	v_and_b32_e32 v8, 0x400000, v2
	v_and_or_b32 v2, v2, s4, v3
	v_cmp_ne_u32_e32 vcc, 0, v8
	v_cmp_ne_u32_e64 s[4:5], 0, v2
	s_and_b64 s[4:5], vcc, s[4:5]
	v_cndmask_b32_e64 v2, 0, 1, s[4:5]
	v_add_u32_e32 v7, v7, v2
; %bb.400:
	s_or_b64 exec, exec, s[6:7]
	s_mov_b64 s[4:5], 0
	global_store_byte v[4:5], v7, off
.LBB9_401:
	s_mov_b64 s[6:7], 0
.LBB9_402:
	s_and_b64 vcc, exec, s[6:7]
	s_cbranch_vccz .LBB9_405
; %bb.403:
	v_cmp_eq_u16_e32 vcc, 29, v6
	s_mov_b64 s[4:5], -1
	s_cbranch_vccz .LBB9_405
; %bb.404:
	v_trunc_f64_e32 v[2:3], v[0:1]
	s_movk_i32 s4, 0xffe0
	v_ldexp_f64 v[8:9], v[2:3], s4
	v_floor_f64_e32 v[8:9], v[8:9]
	v_fmac_f64_e32 v[2:3], 0xc1f00000, v[8:9]
	v_cvt_u32_f64_e32 v11, v[8:9]
	v_cvt_u32_f64_e32 v10, v[2:3]
	global_store_dwordx2 v[4:5], v[10:11], off
	s_mov_b64 s[4:5], 0
.LBB9_405:
	s_mov_b64 s[6:7], 0
.LBB9_406:
	s_and_b64 vcc, exec, s[6:7]
	s_cbranch_vccz .LBB9_421
; %bb.407:
	v_cmp_gt_i16_e32 vcc, 27, v6
	s_mov_b64 s[6:7], -1
	s_cbranch_vccnz .LBB9_413
; %bb.408:
	v_cmp_lt_i16_e32 vcc, 27, v6
	v_cvt_u32_f64_e32 v2, v[0:1]
	s_cbranch_vccz .LBB9_410
; %bb.409:
	s_mov_b64 s[6:7], 0
	global_store_dword v[4:5], v2, off
.LBB9_410:
	s_andn2_b64 vcc, exec, s[6:7]
	s_cbranch_vccnz .LBB9_412
; %bb.411:
	global_store_short v[4:5], v2, off
.LBB9_412:
	s_mov_b64 s[6:7], 0
.LBB9_413:
	s_andn2_b64 vcc, exec, s[6:7]
	s_cbranch_vccnz .LBB9_421
; %bb.414:
	v_cvt_f32_f64_e32 v2, v[0:1]
	v_and_b32_e32 v3, 0x7fffffff, v2
	s_mov_b32 s6, 0x43800000
	v_cmp_gt_u32_e32 vcc, s6, v3
	v_mov_b32_e32 v7, 0x80
	s_and_saveexec_b64 s[6:7], vcc
	s_cbranch_execz .LBB9_420
; %bb.415:
	s_mov_b32 s8, 0x3bffffff
	v_cmp_lt_u32_e32 vcc, s8, v3
	s_mov_b64 s[8:9], 0
                                        ; implicit-def: $vgpr3
	s_and_saveexec_b64 s[10:11], vcc
	s_xor_b64 s[10:11], exec, s[10:11]
	s_cbranch_execz .LBB9_1014
; %bb.416:
	v_bfe_u32 v3, v2, 20, 1
	s_mov_b32 s12, 0x487ffff
	v_add3_u32 v3, v2, v3, s12
	s_mov_b64 s[8:9], exec
	v_lshrrev_b32_e32 v3, 20, v3
	s_or_saveexec_b64 s[10:11], s[10:11]
                                        ; implicit-def: $sgpr12
	s_xor_b64 exec, exec, s[10:11]
	s_cbranch_execnz .LBB9_1015
.LBB9_417:
	s_or_b64 exec, exec, s[10:11]
	v_mov_b32_e32 v7, s12
	s_and_saveexec_b64 s[10:11], s[8:9]
.LBB9_418:
	v_lshrrev_b32_e32 v2, 24, v2
	s_movk_i32 s8, 0x80
	v_and_or_b32 v7, v2, s8, v3
.LBB9_419:
	s_or_b64 exec, exec, s[10:11]
.LBB9_420:
	s_or_b64 exec, exec, s[6:7]
	global_store_byte v[4:5], v7, off
.LBB9_421:
	s_mov_b64 s[8:9], 0
.LBB9_422:
	s_mov_b64 s[6:7], 0
	s_and_b64 vcc, exec, s[8:9]
	s_cbranch_vccz .LBB9_463
; %bb.423:
	v_cmp_lt_i16_e32 vcc, 22, v6
	s_mov_b64 s[8:9], -1
	s_cbranch_vccz .LBB9_455
; %bb.424:
	v_cmp_gt_i16_e32 vcc, 24, v6
	s_cbranch_vccnz .LBB9_444
; %bb.425:
	v_cmp_lt_i16_e32 vcc, 24, v6
	s_cbranch_vccz .LBB9_433
; %bb.426:
	v_cvt_f32_f64_e32 v2, v[0:1]
	v_and_b32_e32 v3, 0x7fffffff, v2
	s_mov_b32 s8, 0x47800000
	v_cmp_gt_u32_e32 vcc, s8, v3
	v_mov_b32_e32 v7, 0x80
	s_and_saveexec_b64 s[8:9], vcc
	s_cbranch_execz .LBB9_432
; %bb.427:
	s_mov_b32 s10, 0x37ffffff
	v_cmp_lt_u32_e32 vcc, s10, v3
	s_mov_b64 s[10:11], 0
                                        ; implicit-def: $vgpr3
	s_and_saveexec_b64 s[12:13], vcc
	s_xor_b64 s[12:13], exec, s[12:13]
	s_cbranch_execz .LBB9_1018
; %bb.428:
	v_bfe_u32 v3, v2, 21, 1
	s_mov_b32 s14, 0x88fffff
	v_add3_u32 v3, v2, v3, s14
	s_mov_b64 s[10:11], exec
	v_lshrrev_b32_e32 v3, 21, v3
	s_or_saveexec_b64 s[12:13], s[12:13]
                                        ; implicit-def: $sgpr14
	s_xor_b64 exec, exec, s[12:13]
	s_cbranch_execnz .LBB9_1019
.LBB9_429:
	s_or_b64 exec, exec, s[12:13]
	v_mov_b32_e32 v7, s14
	s_and_saveexec_b64 s[12:13], s[10:11]
.LBB9_430:
	v_lshrrev_b32_e32 v2, 24, v2
	s_movk_i32 s10, 0x80
	v_and_or_b32 v7, v2, s10, v3
.LBB9_431:
	s_or_b64 exec, exec, s[12:13]
.LBB9_432:
	s_or_b64 exec, exec, s[8:9]
	s_mov_b64 s[8:9], 0
	global_store_byte v[4:5], v7, off
.LBB9_433:
	s_and_b64 vcc, exec, s[8:9]
	s_cbranch_vccz .LBB9_443
; %bb.434:
	v_cvt_f32_f64_e32 v2, v[0:1]
	v_and_b32_e32 v7, 0x7fffffff, v2
	s_mov_b32 s8, 0x43f00000
	v_cmp_gt_u32_e32 vcc, s8, v7
                                        ; implicit-def: $vgpr3
	s_and_saveexec_b64 s[8:9], vcc
	s_xor_b64 s[8:9], exec, s[8:9]
	s_cbranch_execz .LBB9_440
; %bb.435:
	s_mov_b32 s10, 0x3c7fffff
	v_cmp_lt_u32_e32 vcc, s10, v7
                                        ; implicit-def: $vgpr3
	s_and_saveexec_b64 s[10:11], vcc
	s_xor_b64 s[10:11], exec, s[10:11]
; %bb.436:
	v_bfe_u32 v3, v2, 20, 1
	s_mov_b32 s12, 0x407ffff
	v_add3_u32 v3, v2, v3, s12
	v_lshrrev_b32_e32 v7, 20, v3
	v_and_b32_e32 v3, 0xff00000, v3
	s_mov_b32 s12, 0x7f00000
	v_mov_b32_e32 v8, 0x7e
	v_cmp_ne_u32_e32 vcc, s12, v3
	v_cndmask_b32_e32 v3, v8, v7, vcc
; %bb.437:
	s_andn2_saveexec_b64 s[10:11], s[10:11]
; %bb.438:
	s_mov_b32 s12, 0x46800000
	v_add_f32_e64 v3, |v2|, s12
; %bb.439:
	s_or_b64 exec, exec, s[10:11]
                                        ; implicit-def: $vgpr7
.LBB9_440:
	s_andn2_saveexec_b64 s[8:9], s[8:9]
; %bb.441:
	s_mov_b32 s10, 0x7f800000
	v_mov_b32_e32 v3, 0x7e
	v_mov_b32_e32 v8, 0x7f
	v_cmp_lt_u32_e32 vcc, s10, v7
	v_cndmask_b32_e32 v3, v3, v8, vcc
; %bb.442:
	s_or_b64 exec, exec, s[8:9]
	v_lshrrev_b32_e32 v2, 24, v2
	s_movk_i32 s8, 0x80
	v_and_or_b32 v2, v2, s8, v3
	global_store_byte v[4:5], v2, off
.LBB9_443:
	s_mov_b64 s[8:9], 0
.LBB9_444:
	s_andn2_b64 vcc, exec, s[8:9]
	s_cbranch_vccnz .LBB9_454
; %bb.445:
	v_cvt_f32_f64_e32 v2, v[0:1]
	v_and_b32_e32 v7, 0x7fffffff, v2
	s_mov_b32 s8, 0x47800000
	v_cmp_gt_u32_e32 vcc, s8, v7
                                        ; implicit-def: $vgpr3
	s_and_saveexec_b64 s[8:9], vcc
	s_xor_b64 s[8:9], exec, s[8:9]
	s_cbranch_execz .LBB9_451
; %bb.446:
	s_mov_b32 s10, 0x387fffff
	v_cmp_lt_u32_e32 vcc, s10, v7
                                        ; implicit-def: $vgpr3
	s_and_saveexec_b64 s[10:11], vcc
	s_xor_b64 s[10:11], exec, s[10:11]
; %bb.447:
	v_bfe_u32 v3, v2, 21, 1
	s_mov_b32 s12, 0x80fffff
	v_add3_u32 v3, v2, v3, s12
	v_lshrrev_b32_e32 v3, 21, v3
; %bb.448:
	s_andn2_saveexec_b64 s[10:11], s[10:11]
; %bb.449:
	s_mov_b32 s12, 0x43000000
	v_add_f32_e64 v3, |v2|, s12
; %bb.450:
	s_or_b64 exec, exec, s[10:11]
                                        ; implicit-def: $vgpr7
.LBB9_451:
	s_andn2_saveexec_b64 s[8:9], s[8:9]
; %bb.452:
	s_mov_b32 s10, 0x7f800000
	v_mov_b32_e32 v3, 0x7c
	v_mov_b32_e32 v8, 0x7f
	v_cmp_lt_u32_e32 vcc, s10, v7
	v_cndmask_b32_e32 v3, v3, v8, vcc
; %bb.453:
	s_or_b64 exec, exec, s[8:9]
	v_lshrrev_b32_e32 v2, 24, v2
	s_movk_i32 s8, 0x80
	v_and_or_b32 v2, v2, s8, v3
	global_store_byte v[4:5], v2, off
.LBB9_454:
	s_mov_b64 s[8:9], 0
.LBB9_455:
	s_andn2_b64 vcc, exec, s[8:9]
	s_mov_b64 s[8:9], 0
	s_cbranch_vccnz .LBB9_464
; %bb.456:
	v_cmp_lt_i16_e32 vcc, 14, v6
	s_mov_b64 s[10:11], -1
	s_cbranch_vccz .LBB9_460
; %bb.457:
	v_cmp_eq_u16_e32 vcc, 15, v6
	s_mov_b64 s[4:5], -1
	s_cbranch_vccz .LBB9_459
; %bb.458:
	v_cvt_f32_f64_e32 v2, v[0:1]
	v_bfe_u32 v3, v2, 16, 1
	s_movk_i32 s4, 0x7fff
	v_add3_u32 v3, v2, v3, s4
	v_lshrrev_b32_e32 v3, 16, v3
	v_mov_b32_e32 v7, 0x7fc0
	v_cmp_o_f32_e32 vcc, v2, v2
	v_cndmask_b32_e32 v2, v7, v3, vcc
	global_store_short v[4:5], v2, off
	s_mov_b64 s[4:5], 0
.LBB9_459:
	s_mov_b64 s[10:11], 0
.LBB9_460:
	s_and_b64 vcc, exec, s[10:11]
	s_cbranch_vccz .LBB9_464
; %bb.461:
	v_cmp_ne_u16_e32 vcc, 11, v6
	s_andn2_b64 s[4:5], s[4:5], exec
	s_and_b64 s[10:11], vcc, exec
	s_mov_b64 s[8:9], -1
	s_or_b64 s[4:5], s[4:5], s[10:11]
	s_branch .LBB9_464
.LBB9_462:
	s_mov_b64 s[8:9], 0
	s_mov_b64 s[6:7], -1
	s_mov_b64 s[4:5], s[52:53]
	s_branch .LBB9_464
.LBB9_463:
	s_mov_b64 s[8:9], 0
.LBB9_464:
	s_and_b64 s[10:11], s[6:7], exec
	s_and_b64 s[6:7], s[8:9], exec
	s_andn2_b64 s[8:9], s[52:53], exec
	s_and_b64 s[4:5], s[4:5], exec
	s_or_b64 s[8:9], s[8:9], s[4:5]
.LBB9_465:
	s_or_b64 exec, exec, s[54:55]
	s_and_b64 s[4:5], s[6:7], exec
	s_andn2_b64 s[6:7], s[52:53], exec
	s_and_b64 s[8:9], s[8:9], exec
	s_and_b64 s[10:11], s[10:11], exec
	s_or_b64 s[52:53], s[6:7], s[8:9]
.LBB9_466:
	s_or_b64 exec, exec, s[50:51]
	s_and_b64 s[6:7], s[10:11], exec
	s_andn2_b64 s[8:9], s[46:47], exec
	s_and_b64 s[10:11], s[52:53], exec
	s_and_b64 s[4:5], s[4:5], exec
	s_or_b64 s[46:47], s[8:9], s[10:11]
.LBB9_467:
	s_or_b64 exec, exec, s[48:49]
	s_and_b64 s[48:49], s[4:5], exec
	s_andn2_b64 s[4:5], s[42:43], exec
	s_and_b64 s[8:9], s[46:47], exec
	s_and_b64 s[6:7], s[6:7], exec
	s_or_b64 s[42:43], s[4:5], s[8:9]
	s_or_b64 exec, exec, s[44:45]
	s_mov_b64 s[4:5], 0
	s_and_saveexec_b64 s[8:9], s[42:43]
	s_cbranch_execz .LBB9_134
.LBB9_468:
	s_mov_b64 s[4:5], exec
	s_andn2_b64 s[48:49], s[48:49], exec
	s_trap 2
	s_or_b64 exec, exec, s[8:9]
	s_and_saveexec_b64 s[8:9], s[48:49]
	s_xor_b64 s[8:9], exec, s[8:9]
	s_cbranch_execnz .LBB9_135
.LBB9_469:
	s_or_b64 exec, exec, s[8:9]
	s_and_saveexec_b64 s[8:9], s[6:7]
	s_xor_b64 s[6:7], exec, s[8:9]
	s_cbranch_execz .LBB9_507
.LBB9_470:
	v_cmp_gt_i16_e32 vcc, 5, v6
	s_mov_b64 s[8:9], -1
	s_cbranch_vccnz .LBB9_491
; %bb.471:
	v_cmp_gt_i16_e32 vcc, 8, v6
	s_cbranch_vccnz .LBB9_481
; %bb.472:
	v_cmp_gt_i16_e32 vcc, 9, v6
	s_cbranch_vccnz .LBB9_478
; %bb.473:
	v_cmp_lt_i16_e32 vcc, 9, v6
	s_cbranch_vccz .LBB9_475
; %bb.474:
	v_mov_b32_e32 v2, 0
	v_mov_b32_e32 v3, v2
	s_mov_b64 s[8:9], 0
	global_store_dwordx4 v[4:5], v[0:3], off
.LBB9_475:
	s_andn2_b64 vcc, exec, s[8:9]
	s_cbranch_vccnz .LBB9_477
; %bb.476:
	v_cvt_f32_f64_e32 v2, v[0:1]
	v_mov_b32_e32 v3, 0
	global_store_dwordx2 v[4:5], v[2:3], off
.LBB9_477:
	s_mov_b64 s[8:9], 0
.LBB9_478:
	s_andn2_b64 vcc, exec, s[8:9]
	s_cbranch_vccnz .LBB9_480
; %bb.479:
	v_cvt_f32_f64_e32 v2, v[0:1]
	v_cvt_f16_f32_e32 v2, v2
	global_store_dword v[4:5], v2, off
.LBB9_480:
	s_mov_b64 s[8:9], 0
.LBB9_481:
	s_andn2_b64 vcc, exec, s[8:9]
	s_cbranch_vccnz .LBB9_490
; %bb.482:
	v_cmp_gt_i16_e32 vcc, 6, v6
	s_mov_b64 s[8:9], -1
	s_cbranch_vccnz .LBB9_488
; %bb.483:
	v_cmp_lt_i16_e32 vcc, 6, v6
	s_cbranch_vccz .LBB9_485
; %bb.484:
	s_mov_b64 s[8:9], 0
	global_store_dwordx2 v[4:5], v[0:1], off
.LBB9_485:
	s_andn2_b64 vcc, exec, s[8:9]
	s_cbranch_vccnz .LBB9_487
; %bb.486:
	v_cvt_f32_f64_e32 v2, v[0:1]
	global_store_dword v[4:5], v2, off
.LBB9_487:
	s_mov_b64 s[8:9], 0
.LBB9_488:
	s_andn2_b64 vcc, exec, s[8:9]
	s_cbranch_vccnz .LBB9_490
; %bb.489:
	v_cvt_f32_f64_e32 v2, v[0:1]
	v_cvt_f16_f32_e32 v2, v2
	global_store_short v[4:5], v2, off
.LBB9_490:
	s_mov_b64 s[8:9], 0
.LBB9_491:
	s_andn2_b64 vcc, exec, s[8:9]
	s_cbranch_vccnz .LBB9_507
; %bb.492:
	v_cmp_gt_i16_e32 vcc, 2, v6
	s_mov_b64 s[8:9], -1
	s_cbranch_vccnz .LBB9_502
; %bb.493:
	v_cmp_gt_i16_e32 vcc, 3, v6
	s_cbranch_vccnz .LBB9_499
; %bb.494:
	v_cmp_lt_i16_e32 vcc, 3, v6
	s_cbranch_vccz .LBB9_496
; %bb.495:
	v_trunc_f64_e32 v[2:3], v[0:1]
	s_movk_i32 s8, 0xffe0
	v_ldexp_f64 v[8:9], v[2:3], s8
	v_floor_f64_e32 v[8:9], v[8:9]
	v_fmac_f64_e32 v[2:3], 0xc1f00000, v[8:9]
	v_cvt_i32_f64_e32 v11, v[8:9]
	v_cvt_u32_f64_e32 v10, v[2:3]
	s_mov_b64 s[8:9], 0
	global_store_dwordx2 v[4:5], v[10:11], off
.LBB9_496:
	s_andn2_b64 vcc, exec, s[8:9]
	s_cbranch_vccnz .LBB9_498
; %bb.497:
	v_cvt_i32_f64_e32 v2, v[0:1]
	global_store_dword v[4:5], v2, off
.LBB9_498:
	s_mov_b64 s[8:9], 0
.LBB9_499:
	s_andn2_b64 vcc, exec, s[8:9]
	s_cbranch_vccnz .LBB9_501
; %bb.500:
	v_cvt_i32_f64_e32 v2, v[0:1]
	global_store_short v[4:5], v2, off
.LBB9_501:
	s_mov_b64 s[8:9], 0
.LBB9_502:
	s_andn2_b64 vcc, exec, s[8:9]
	s_cbranch_vccnz .LBB9_507
; %bb.503:
	v_cmp_lt_i16_e32 vcc, 0, v6
	s_mov_b64 s[8:9], -1
	s_cbranch_vccz .LBB9_505
; %bb.504:
	v_cvt_i32_f64_e32 v2, v[0:1]
	s_mov_b64 s[8:9], 0
	global_store_byte v[4:5], v2, off
.LBB9_505:
	s_andn2_b64 vcc, exec, s[8:9]
	s_cbranch_vccnz .LBB9_507
; %bb.506:
	v_trunc_f64_e32 v[0:1], v[0:1]
	s_movk_i32 s8, 0xffe0
	v_ldexp_f64 v[2:3], v[0:1], s8
	v_floor_f64_e32 v[2:3], v[2:3]
	v_fmac_f64_e32 v[0:1], 0xc1f00000, v[2:3]
	v_cvt_u32_f64_e32 v0, v[0:1]
	global_store_byte v[4:5], v0, off
.LBB9_507:
	s_or_b64 exec, exec, s[6:7]
	s_and_b64 s[42:43], s[4:5], exec
                                        ; implicit-def: $vgpr32
                                        ; implicit-def: $vgpr23
                                        ; implicit-def: $vgpr30
                                        ; implicit-def: $vgpr31
.LBB9_508:
	s_or_saveexec_b64 s[40:41], s[40:41]
	s_mov_b64 s[4:5], 0
                                        ; implicit-def: $vgpr6
                                        ; implicit-def: $vgpr4_vgpr5
                                        ; implicit-def: $vgpr0_vgpr1
	s_xor_b64 exec, exec, s[40:41]
	s_cbranch_execz .LBB9_959
; %bb.509:
	v_mov_b32_e32 v0, s38
	v_mov_b32_e32 v1, s39
	;; [unrolled: 1-line block ×5, first 2 shown]
	v_add_u32_e32 v24, 0x80, v23
	v_add_u32_e32 v25, 0x100, v23
	s_getpc_b64 s[34:35]
	s_add_u32 s34, s34, _ZN2at6native6invokeIZZZNS0_12_GLOBAL__N_137scaled_modified_bessel_k0_kernel_cudaERNS_18TensorIteratorBaseEENKUlvE_clEvENKUlvE_clEvEUldE_i15function_traitsIS7_EEENT1_11result_typeERKT_PrKPcPKT0_PKN3c1010ScalarTypeEi@rel32@lo+4
	s_addc_u32 s35, s35, _ZN2at6native6invokeIZZZNS0_12_GLOBAL__N_137scaled_modified_bessel_k0_kernel_cudaERNS_18TensorIteratorBaseEENKUlvE_clEvENKUlvE_clEvEUldE_i15function_traitsIS7_EEENT1_11result_typeERKT_PrKPcPKT0_PKN3c1010ScalarTypeEi@rel32@hi+12
	s_swappc_b64 s[30:31], s[34:35]
	v_mov_b32_e32 v28, v0
	v_mov_b32_e32 v29, v1
	v_mov_b32_e32 v0, s38
	v_mov_b32_e32 v1, s39
	v_mov_b32_e32 v2, s29
	v_mov_b32_e32 v3, v30
	v_mov_b32_e32 v4, v24
	s_swappc_b64 s[30:31], s[34:35]
	v_mov_b32_e32 v26, v0
	v_mov_b32_e32 v27, v1
	v_mov_b32_e32 v0, s38
	v_mov_b32_e32 v1, s39
	v_mov_b32_e32 v2, s29
	v_mov_b32_e32 v3, v30
	v_mov_b32_e32 v4, v25
	s_swappc_b64 s[30:31], s[34:35]
	v_mov_b32_e32 v24, v0
	v_mov_b32_e32 v25, v1
	v_mov_b32_e32 v0, s38
	v_mov_b32_e32 v1, s39
	v_mov_b32_e32 v2, s29
	v_mov_b32_e32 v3, v30
	v_mov_b32_e32 v4, v31
	s_swappc_b64 s[30:31], s[34:35]
	v_mul_lo_u32 v4, s28, v23
	v_ashrrev_i32_e32 v3, 31, v4
	v_mov_b32_e32 v5, s37
	v_add_co_u32_e32 v2, vcc, s36, v4
	v_addc_co_u32_e32 v3, vcc, v5, v3, vcc
	v_mov_b32_e32 v5, 11
	v_cmp_lt_i16_sdwa s[4:5], v32, v5 src0_sel:BYTE_0 src1_sel:DWORD
	s_and_b64 vcc, exec, s[4:5]
	s_cbranch_vccnz .LBB9_516
; %bb.510:
	v_mov_b32_e32 v5, 25
	v_cmp_gt_i16_sdwa s[4:5], v32, v5 src0_sel:BYTE_0 src1_sel:DWORD
	s_mov_b64 s[6:7], -1
	s_mov_b64 s[8:9], 0
	s_and_b64 vcc, exec, s[4:5]
	s_mov_b64 s[10:11], 0
	s_mov_b64 s[4:5], 0
	s_cbranch_vccz .LBB9_546
; %bb.511:
	v_mov_b32_e32 v5, 28
	v_cmp_gt_i16_sdwa s[4:5], v32, v5 src0_sel:BYTE_0 src1_sel:DWORD
	s_and_b64 vcc, exec, s[4:5]
	s_cbranch_vccz .LBB9_518
; %bb.512:
	v_mov_b32_e32 v5, 43
	v_cmp_gt_i16_sdwa s[4:5], v32, v5 src0_sel:BYTE_0 src1_sel:DWORD
	s_and_b64 vcc, exec, s[4:5]
	;; [unrolled: 5-line block ×3, first 2 shown]
	s_cbranch_vccz .LBB9_520
; %bb.514:
	v_mov_b32_e32 v5, 46
	v_cmp_eq_u16_sdwa s[10:11], v32, v5 src0_sel:BYTE_0 src1_sel:DWORD
	s_mov_b64 s[4:5], -1
	s_mov_b64 s[6:7], 0
	s_and_b64 vcc, exec, s[10:11]
	s_mov_b64 s[10:11], 0
	s_cbranch_vccz .LBB9_521
; %bb.515:
	v_cvt_f32_f64_e32 v5, v[28:29]
	v_bfe_u32 v6, v5, 16, 1
	s_movk_i32 s4, 0x7fff
	v_add3_u32 v6, v5, v6, s4
	v_lshrrev_b32_e32 v6, 16, v6
	v_mov_b32_e32 v7, 0x7fc0
	v_cmp_o_f32_e32 vcc, v5, v5
	v_cndmask_b32_e32 v5, v7, v6, vcc
	global_store_dword v[2:3], v5, off
	s_mov_b64 s[4:5], 0
	s_mov_b64 s[10:11], -1
	s_branch .LBB9_521
.LBB9_516:
	s_mov_b64 s[10:11], 0
	s_mov_b64 s[6:7], s[42:43]
	s_cbranch_execnz .LBB9_590
.LBB9_517:
	s_andn2_b64 vcc, exec, s[10:11]
	s_cbranch_vccz .LBB9_628
	s_branch .LBB9_957
.LBB9_518:
	s_mov_b64 s[4:5], 0
	s_and_b64 vcc, exec, s[6:7]
	s_cbranch_vccz .LBB9_545
	s_branch .LBB9_530
.LBB9_519:
	s_mov_b64 s[4:5], 0
	s_and_b64 vcc, exec, s[6:7]
	s_cbranch_vccnz .LBB9_527
	s_branch .LBB9_529
.LBB9_520:
	s_mov_b64 s[4:5], 0
.LBB9_521:
	s_and_b64 vcc, exec, s[6:7]
	s_cbranch_vccz .LBB9_526
; %bb.522:
	v_mov_b32_e32 v5, 44
	v_cmp_eq_u16_sdwa s[6:7], v32, v5 src0_sel:BYTE_0 src1_sel:DWORD
	s_mov_b64 s[4:5], -1
	s_and_b64 vcc, exec, s[6:7]
	s_cbranch_vccz .LBB9_526
; %bb.523:
	v_cvt_f32_f64_e32 v5, v[28:29]
	v_bfe_u32 v6, v5, 23, 8
	s_movk_i32 s4, 0xff
	v_cmp_ne_u32_e32 vcc, s4, v6
	v_mov_b32_e32 v7, 0xff
	s_and_saveexec_b64 s[6:7], vcc
; %bb.524:
	s_mov_b32 s4, 0x3fffff
	v_lshrrev_b32_e32 v7, 23, v5
	v_and_b32_e32 v8, 0x400000, v5
	v_and_or_b32 v5, v5, s4, v6
	v_cmp_ne_u32_e32 vcc, 0, v8
	v_cmp_ne_u32_e64 s[4:5], 0, v5
	s_and_b64 s[4:5], vcc, s[4:5]
	v_cndmask_b32_e64 v5, 0, 1, s[4:5]
	v_add_u32_e32 v7, v7, v5
; %bb.525:
	s_or_b64 exec, exec, s[6:7]
	s_mov_b64 s[4:5], 0
	s_mov_b64 s[10:11], -1
	global_store_byte v[2:3], v7, off
.LBB9_526:
	s_branch .LBB9_529
.LBB9_527:
	v_mov_b32_e32 v5, 29
	v_cmp_eq_u16_sdwa s[6:7], v32, v5 src0_sel:BYTE_0 src1_sel:DWORD
	s_mov_b64 s[4:5], -1
	s_and_b64 vcc, exec, s[6:7]
	s_cbranch_vccz .LBB9_529
; %bb.528:
	v_trunc_f64_e32 v[6:7], v[28:29]
	s_movk_i32 s4, 0xffe0
	v_ldexp_f64 v[8:9], v[6:7], s4
	v_floor_f64_e32 v[8:9], v[8:9]
	v_fmac_f64_e32 v[6:7], 0xc1f00000, v[8:9]
	v_cvt_u32_f64_e32 v11, v[8:9]
	v_cvt_u32_f64_e32 v10, v[6:7]
	global_store_dwordx2 v[2:3], v[10:11], off
	s_mov_b64 s[4:5], 0
	s_mov_b64 s[10:11], -1
.LBB9_529:
	s_branch .LBB9_545
.LBB9_530:
	v_mov_b32_e32 v5, 27
	v_cmp_lt_i16_sdwa s[10:11], v32, v5 src0_sel:BYTE_0 src1_sel:DWORD
	s_mov_b64 s[6:7], -1
	s_and_b64 vcc, exec, s[10:11]
	s_cbranch_vccnz .LBB9_536
; %bb.531:
	v_cmp_gt_i16_sdwa s[10:11], v32, v5 src0_sel:BYTE_0 src1_sel:DWORD
	s_and_b64 vcc, exec, s[10:11]
	v_cvt_u32_f64_e32 v5, v[28:29]
	s_cbranch_vccz .LBB9_533
; %bb.532:
	s_mov_b64 s[6:7], 0
	global_store_dword v[2:3], v5, off
.LBB9_533:
	s_andn2_b64 vcc, exec, s[6:7]
	s_cbranch_vccnz .LBB9_535
; %bb.534:
	global_store_short v[2:3], v5, off
.LBB9_535:
	s_mov_b64 s[6:7], 0
.LBB9_536:
	s_andn2_b64 vcc, exec, s[6:7]
	s_cbranch_vccnz .LBB9_544
; %bb.537:
	v_cvt_f32_f64_e32 v5, v[28:29]
	v_and_b32_e32 v6, 0x7fffffff, v5
	s_mov_b32 s6, 0x43800000
	v_cmp_gt_u32_e32 vcc, s6, v6
	v_mov_b32_e32 v7, 0x80
	s_and_saveexec_b64 s[6:7], vcc
	s_cbranch_execz .LBB9_543
; %bb.538:
	s_mov_b32 s10, 0x3bffffff
	v_cmp_lt_u32_e32 vcc, s10, v6
	s_mov_b64 s[10:11], 0
                                        ; implicit-def: $vgpr6
	s_and_saveexec_b64 s[12:13], vcc
	s_xor_b64 s[12:13], exec, s[12:13]
	s_cbranch_execz .LBB9_638
; %bb.539:
	v_bfe_u32 v6, v5, 20, 1
	s_mov_b32 s14, 0x487ffff
	v_add3_u32 v6, v5, v6, s14
	s_mov_b64 s[10:11], exec
	v_lshrrev_b32_e32 v6, 20, v6
	s_or_saveexec_b64 s[12:13], s[12:13]
                                        ; implicit-def: $sgpr14
	s_xor_b64 exec, exec, s[12:13]
	s_cbranch_execnz .LBB9_639
.LBB9_540:
	s_or_b64 exec, exec, s[12:13]
	v_mov_b32_e32 v7, s14
	s_and_saveexec_b64 s[12:13], s[10:11]
.LBB9_541:
	v_lshrrev_b32_e32 v5, 24, v5
	s_movk_i32 s10, 0x80
	v_and_or_b32 v7, v5, s10, v6
.LBB9_542:
	s_or_b64 exec, exec, s[12:13]
.LBB9_543:
	s_or_b64 exec, exec, s[6:7]
	global_store_byte v[2:3], v7, off
.LBB9_544:
	s_mov_b64 s[10:11], -1
.LBB9_545:
	s_mov_b64 s[6:7], 0
.LBB9_546:
	s_and_b64 vcc, exec, s[6:7]
	s_cbranch_vccz .LBB9_586
; %bb.547:
	v_mov_b32_e32 v5, 22
	v_cmp_gt_i16_sdwa s[8:9], v32, v5 src0_sel:BYTE_0 src1_sel:DWORD
	s_mov_b64 s[6:7], -1
	s_and_b64 vcc, exec, s[8:9]
	s_cbranch_vccz .LBB9_579
; %bb.548:
	v_mov_b32_e32 v5, 24
	v_cmp_lt_i16_sdwa s[8:9], v32, v5 src0_sel:BYTE_0 src1_sel:DWORD
	s_and_b64 vcc, exec, s[8:9]
	s_cbranch_vccnz .LBB9_568
; %bb.549:
	v_cmp_gt_i16_sdwa s[8:9], v32, v5 src0_sel:BYTE_0 src1_sel:DWORD
	s_and_b64 vcc, exec, s[8:9]
	s_cbranch_vccz .LBB9_557
; %bb.550:
	v_cvt_f32_f64_e32 v5, v[28:29]
	v_and_b32_e32 v6, 0x7fffffff, v5
	s_mov_b32 s6, 0x47800000
	v_cmp_gt_u32_e32 vcc, s6, v6
	v_mov_b32_e32 v7, 0x80
	s_and_saveexec_b64 s[6:7], vcc
	s_cbranch_execz .LBB9_556
; %bb.551:
	s_mov_b32 s8, 0x37ffffff
	v_cmp_lt_u32_e32 vcc, s8, v6
	s_mov_b64 s[8:9], 0
                                        ; implicit-def: $vgpr6
	s_and_saveexec_b64 s[10:11], vcc
	s_xor_b64 s[10:11], exec, s[10:11]
	s_cbranch_execz .LBB9_642
; %bb.552:
	v_bfe_u32 v6, v5, 21, 1
	s_mov_b32 s12, 0x88fffff
	v_add3_u32 v6, v5, v6, s12
	s_mov_b64 s[8:9], exec
	v_lshrrev_b32_e32 v6, 21, v6
	s_or_saveexec_b64 s[10:11], s[10:11]
                                        ; implicit-def: $sgpr12
	s_xor_b64 exec, exec, s[10:11]
	s_cbranch_execnz .LBB9_643
.LBB9_553:
	s_or_b64 exec, exec, s[10:11]
	v_mov_b32_e32 v7, s12
	s_and_saveexec_b64 s[10:11], s[8:9]
.LBB9_554:
	v_lshrrev_b32_e32 v5, 24, v5
	s_movk_i32 s8, 0x80
	v_and_or_b32 v7, v5, s8, v6
.LBB9_555:
	s_or_b64 exec, exec, s[10:11]
.LBB9_556:
	s_or_b64 exec, exec, s[6:7]
	s_mov_b64 s[6:7], 0
	global_store_byte v[2:3], v7, off
.LBB9_557:
	s_and_b64 vcc, exec, s[6:7]
	s_cbranch_vccz .LBB9_567
; %bb.558:
	v_cvt_f32_f64_e32 v5, v[28:29]
	v_and_b32_e32 v7, 0x7fffffff, v5
	s_mov_b32 s6, 0x43f00000
	v_cmp_gt_u32_e32 vcc, s6, v7
                                        ; implicit-def: $vgpr6
	s_and_saveexec_b64 s[6:7], vcc
	s_xor_b64 s[6:7], exec, s[6:7]
	s_cbranch_execz .LBB9_564
; %bb.559:
	s_mov_b32 s8, 0x3c7fffff
	v_cmp_lt_u32_e32 vcc, s8, v7
                                        ; implicit-def: $vgpr6
	s_and_saveexec_b64 s[8:9], vcc
	s_xor_b64 s[8:9], exec, s[8:9]
; %bb.560:
	v_bfe_u32 v6, v5, 20, 1
	s_mov_b32 s10, 0x407ffff
	v_add3_u32 v6, v5, v6, s10
	v_lshrrev_b32_e32 v7, 20, v6
	v_and_b32_e32 v6, 0xff00000, v6
	s_mov_b32 s10, 0x7f00000
	v_mov_b32_e32 v8, 0x7e
	v_cmp_ne_u32_e32 vcc, s10, v6
	v_cndmask_b32_e32 v6, v8, v7, vcc
; %bb.561:
	s_andn2_saveexec_b64 s[8:9], s[8:9]
; %bb.562:
	s_mov_b32 s10, 0x46800000
	v_add_f32_e64 v6, |v5|, s10
; %bb.563:
	s_or_b64 exec, exec, s[8:9]
                                        ; implicit-def: $vgpr7
.LBB9_564:
	s_andn2_saveexec_b64 s[6:7], s[6:7]
; %bb.565:
	s_mov_b32 s8, 0x7f800000
	v_mov_b32_e32 v6, 0x7e
	v_mov_b32_e32 v8, 0x7f
	v_cmp_lt_u32_e32 vcc, s8, v7
	v_cndmask_b32_e32 v6, v6, v8, vcc
; %bb.566:
	s_or_b64 exec, exec, s[6:7]
	v_lshrrev_b32_e32 v5, 24, v5
	s_movk_i32 s6, 0x80
	v_and_or_b32 v5, v5, s6, v6
	global_store_byte v[2:3], v5, off
.LBB9_567:
	s_mov_b64 s[6:7], 0
.LBB9_568:
	s_andn2_b64 vcc, exec, s[6:7]
	s_cbranch_vccnz .LBB9_578
; %bb.569:
	v_cvt_f32_f64_e32 v5, v[28:29]
	v_and_b32_e32 v7, 0x7fffffff, v5
	s_mov_b32 s6, 0x47800000
	v_cmp_gt_u32_e32 vcc, s6, v7
                                        ; implicit-def: $vgpr6
	s_and_saveexec_b64 s[6:7], vcc
	s_xor_b64 s[6:7], exec, s[6:7]
	s_cbranch_execz .LBB9_575
; %bb.570:
	s_mov_b32 s8, 0x387fffff
	v_cmp_lt_u32_e32 vcc, s8, v7
                                        ; implicit-def: $vgpr6
	s_and_saveexec_b64 s[8:9], vcc
	s_xor_b64 s[8:9], exec, s[8:9]
; %bb.571:
	v_bfe_u32 v6, v5, 21, 1
	s_mov_b32 s10, 0x80fffff
	v_add3_u32 v6, v5, v6, s10
	v_lshrrev_b32_e32 v6, 21, v6
; %bb.572:
	s_andn2_saveexec_b64 s[8:9], s[8:9]
; %bb.573:
	s_mov_b32 s10, 0x43000000
	v_add_f32_e64 v6, |v5|, s10
; %bb.574:
	s_or_b64 exec, exec, s[8:9]
                                        ; implicit-def: $vgpr7
.LBB9_575:
	s_andn2_saveexec_b64 s[6:7], s[6:7]
; %bb.576:
	s_mov_b32 s8, 0x7f800000
	v_mov_b32_e32 v6, 0x7c
	v_mov_b32_e32 v8, 0x7f
	v_cmp_lt_u32_e32 vcc, s8, v7
	v_cndmask_b32_e32 v6, v6, v8, vcc
; %bb.577:
	s_or_b64 exec, exec, s[6:7]
	v_lshrrev_b32_e32 v5, 24, v5
	s_movk_i32 s6, 0x80
	v_and_or_b32 v5, v5, s6, v6
	global_store_byte v[2:3], v5, off
.LBB9_578:
	s_mov_b64 s[6:7], 0
	s_mov_b64 s[10:11], -1
.LBB9_579:
	s_andn2_b64 vcc, exec, s[6:7]
	s_mov_b64 s[8:9], 0
	s_cbranch_vccnz .LBB9_586
; %bb.580:
	v_mov_b32_e32 v5, 14
	v_cmp_gt_i16_sdwa s[8:9], v32, v5 src0_sel:BYTE_0 src1_sel:DWORD
	s_mov_b64 s[6:7], -1
	s_and_b64 vcc, exec, s[8:9]
	s_cbranch_vccz .LBB9_584
; %bb.581:
	v_mov_b32_e32 v5, 15
	v_cmp_eq_u16_sdwa s[6:7], v32, v5 src0_sel:BYTE_0 src1_sel:DWORD
	s_mov_b64 s[4:5], -1
	s_and_b64 vcc, exec, s[6:7]
	s_cbranch_vccz .LBB9_583
; %bb.582:
	v_cvt_f32_f64_e32 v5, v[28:29]
	v_bfe_u32 v6, v5, 16, 1
	s_movk_i32 s4, 0x7fff
	v_add3_u32 v6, v5, v6, s4
	v_lshrrev_b32_e32 v6, 16, v6
	v_mov_b32_e32 v7, 0x7fc0
	v_cmp_o_f32_e32 vcc, v5, v5
	v_cndmask_b32_e32 v5, v7, v6, vcc
	global_store_short v[2:3], v5, off
	s_mov_b64 s[4:5], 0
	s_mov_b64 s[10:11], -1
.LBB9_583:
	s_mov_b64 s[6:7], 0
.LBB9_584:
	s_mov_b64 s[8:9], 0
	s_and_b64 vcc, exec, s[6:7]
	s_cbranch_vccz .LBB9_586
; %bb.585:
	v_mov_b32_e32 v5, 11
	v_cmp_ne_u16_sdwa s[4:5], v32, v5 src0_sel:BYTE_0 src1_sel:DWORD
	s_mov_b64 s[8:9], -1
.LBB9_586:
	s_and_b64 vcc, exec, s[4:5]
	s_mov_b64 s[6:7], s[42:43]
	s_cbranch_vccnz .LBB9_641
; %bb.587:
	s_andn2_b64 vcc, exec, s[8:9]
	s_cbranch_vccnz .LBB9_589
.LBB9_588:
	v_cmp_neq_f64_e32 vcc, 0, v[28:29]
	v_cndmask_b32_e64 v5, 0, 1, vcc
	global_store_byte v[2:3], v5, off
	s_mov_b64 s[10:11], -1
.LBB9_589:
	s_branch .LBB9_517
.LBB9_590:
	v_mov_b32_e32 v5, 5
	v_cmp_lt_i16_sdwa s[8:9], v32, v5 src0_sel:BYTE_0 src1_sel:DWORD
	s_mov_b64 s[4:5], -1
	s_and_b64 vcc, exec, s[8:9]
	s_cbranch_vccnz .LBB9_611
; %bb.591:
	v_mov_b32_e32 v5, 8
	v_cmp_lt_i16_sdwa s[8:9], v32, v5 src0_sel:BYTE_0 src1_sel:DWORD
	s_and_b64 vcc, exec, s[8:9]
	s_cbranch_vccnz .LBB9_601
; %bb.592:
	v_mov_b32_e32 v5, 9
	v_cmp_lt_i16_sdwa s[8:9], v32, v5 src0_sel:BYTE_0 src1_sel:DWORD
	s_and_b64 vcc, exec, s[8:9]
	s_cbranch_vccnz .LBB9_598
; %bb.593:
	v_cmp_gt_i16_sdwa s[8:9], v32, v5 src0_sel:BYTE_0 src1_sel:DWORD
	s_and_b64 vcc, exec, s[8:9]
	s_cbranch_vccz .LBB9_595
; %bb.594:
	v_mov_b32_e32 v30, 0
	v_mov_b32_e32 v31, v30
	global_store_dwordx4 v[2:3], v[28:31], off
	s_mov_b64 s[4:5], 0
.LBB9_595:
	s_andn2_b64 vcc, exec, s[4:5]
	s_cbranch_vccnz .LBB9_597
; %bb.596:
	v_cvt_f32_f64_e32 v6, v[28:29]
	v_mov_b32_e32 v7, 0
	global_store_dwordx2 v[2:3], v[6:7], off
.LBB9_597:
	s_mov_b64 s[4:5], 0
.LBB9_598:
	s_andn2_b64 vcc, exec, s[4:5]
	s_cbranch_vccnz .LBB9_600
; %bb.599:
	v_cvt_f32_f64_e32 v5, v[28:29]
	v_cvt_f16_f32_e32 v5, v5
	global_store_dword v[2:3], v5, off
.LBB9_600:
	s_mov_b64 s[4:5], 0
.LBB9_601:
	s_andn2_b64 vcc, exec, s[4:5]
	s_cbranch_vccnz .LBB9_610
; %bb.602:
	v_mov_b32_e32 v5, 6
	v_cmp_lt_i16_sdwa s[8:9], v32, v5 src0_sel:BYTE_0 src1_sel:DWORD
	s_mov_b64 s[4:5], -1
	s_and_b64 vcc, exec, s[8:9]
	s_cbranch_vccnz .LBB9_608
; %bb.603:
	v_cmp_gt_i16_sdwa s[8:9], v32, v5 src0_sel:BYTE_0 src1_sel:DWORD
	s_and_b64 vcc, exec, s[8:9]
	s_cbranch_vccz .LBB9_605
; %bb.604:
	global_store_dwordx2 v[2:3], v[28:29], off
	s_mov_b64 s[4:5], 0
.LBB9_605:
	s_andn2_b64 vcc, exec, s[4:5]
	s_cbranch_vccnz .LBB9_607
; %bb.606:
	v_cvt_f32_f64_e32 v5, v[28:29]
	global_store_dword v[2:3], v5, off
.LBB9_607:
	s_mov_b64 s[4:5], 0
.LBB9_608:
	s_andn2_b64 vcc, exec, s[4:5]
	s_cbranch_vccnz .LBB9_610
; %bb.609:
	v_cvt_f32_f64_e32 v5, v[28:29]
	v_cvt_f16_f32_e32 v5, v5
	global_store_short v[2:3], v5, off
.LBB9_610:
	s_mov_b64 s[4:5], 0
.LBB9_611:
	s_andn2_b64 vcc, exec, s[4:5]
	s_cbranch_vccnz .LBB9_627
; %bb.612:
	v_mov_b32_e32 v5, 2
	v_cmp_lt_i16_sdwa s[8:9], v32, v5 src0_sel:BYTE_0 src1_sel:DWORD
	s_mov_b64 s[4:5], -1
	s_and_b64 vcc, exec, s[8:9]
	s_cbranch_vccnz .LBB9_622
; %bb.613:
	v_mov_b32_e32 v5, 3
	v_cmp_lt_i16_sdwa s[8:9], v32, v5 src0_sel:BYTE_0 src1_sel:DWORD
	s_and_b64 vcc, exec, s[8:9]
	s_cbranch_vccnz .LBB9_619
; %bb.614:
	v_cmp_gt_i16_sdwa s[8:9], v32, v5 src0_sel:BYTE_0 src1_sel:DWORD
	s_and_b64 vcc, exec, s[8:9]
	s_cbranch_vccz .LBB9_616
; %bb.615:
	v_trunc_f64_e32 v[6:7], v[28:29]
	s_movk_i32 s4, 0xffe0
	v_ldexp_f64 v[8:9], v[6:7], s4
	v_floor_f64_e32 v[8:9], v[8:9]
	v_fmac_f64_e32 v[6:7], 0xc1f00000, v[8:9]
	v_cvt_i32_f64_e32 v11, v[8:9]
	v_cvt_u32_f64_e32 v10, v[6:7]
	global_store_dwordx2 v[2:3], v[10:11], off
	s_mov_b64 s[4:5], 0
.LBB9_616:
	s_andn2_b64 vcc, exec, s[4:5]
	s_cbranch_vccnz .LBB9_618
; %bb.617:
	v_cvt_i32_f64_e32 v5, v[28:29]
	global_store_dword v[2:3], v5, off
.LBB9_618:
	s_mov_b64 s[4:5], 0
.LBB9_619:
	s_andn2_b64 vcc, exec, s[4:5]
	s_cbranch_vccnz .LBB9_621
; %bb.620:
	v_cvt_i32_f64_e32 v5, v[28:29]
	global_store_short v[2:3], v5, off
.LBB9_621:
	s_mov_b64 s[4:5], 0
.LBB9_622:
	s_andn2_b64 vcc, exec, s[4:5]
	s_cbranch_vccnz .LBB9_627
; %bb.623:
	v_mov_b32_e32 v5, 0
	v_cmp_gt_i16_sdwa s[8:9], v32, v5 src0_sel:BYTE_0 src1_sel:DWORD
	s_mov_b64 s[4:5], -1
	s_and_b64 vcc, exec, s[8:9]
	s_cbranch_vccz .LBB9_625
; %bb.624:
	v_cvt_i32_f64_e32 v5, v[28:29]
	global_store_byte v[2:3], v5, off
	s_mov_b64 s[4:5], 0
.LBB9_625:
	s_andn2_b64 vcc, exec, s[4:5]
	s_cbranch_vccnz .LBB9_627
; %bb.626:
	v_trunc_f64_e32 v[6:7], v[28:29]
	s_movk_i32 s4, 0xffe0
	v_ldexp_f64 v[8:9], v[6:7], s4
	v_floor_f64_e32 v[8:9], v[8:9]
	v_fmac_f64_e32 v[6:7], 0xc1f00000, v[8:9]
	v_cvt_u32_f64_e32 v5, v[6:7]
	global_store_byte v[2:3], v5, off
.LBB9_627:
.LBB9_628:
	s_lshl_b32 s16, s28, 7
	v_add_u32_e32 v4, s16, v4
	v_ashrrev_i32_e32 v3, 31, v4
	v_mov_b32_e32 v5, s37
	v_add_co_u32_e32 v2, vcc, s36, v4
	v_addc_co_u32_e32 v3, vcc, v5, v3, vcc
	v_mov_b32_e32 v5, 11
	v_cmp_lt_i16_sdwa s[4:5], v32, v5 src0_sel:BYTE_0 src1_sel:DWORD
	s_and_b64 vcc, exec, s[4:5]
	s_cbranch_vccnz .LBB9_635
; %bb.629:
	v_mov_b32_e32 v5, 25
	v_cmp_gt_i16_sdwa s[4:5], v32, v5 src0_sel:BYTE_0 src1_sel:DWORD
	s_mov_b64 s[12:13], -1
	s_mov_b64 s[8:9], 0
	s_and_b64 vcc, exec, s[4:5]
	s_mov_b64 s[10:11], 0
	s_mov_b64 s[4:5], 0
	s_cbranch_vccz .LBB9_672
; %bb.630:
	v_mov_b32_e32 v5, 28
	v_cmp_gt_i16_sdwa s[4:5], v32, v5 src0_sel:BYTE_0 src1_sel:DWORD
	s_and_b64 vcc, exec, s[4:5]
	s_cbranch_vccz .LBB9_637
; %bb.631:
	v_mov_b32_e32 v5, 43
	v_cmp_gt_i16_sdwa s[4:5], v32, v5 src0_sel:BYTE_0 src1_sel:DWORD
	s_and_b64 vcc, exec, s[4:5]
	s_cbranch_vccz .LBB9_640
; %bb.632:
	v_mov_b32_e32 v5, 45
	v_cmp_gt_i16_sdwa s[4:5], v32, v5 src0_sel:BYTE_0 src1_sel:DWORD
	s_and_b64 vcc, exec, s[4:5]
	s_cbranch_vccz .LBB9_644
; %bb.633:
	v_mov_b32_e32 v5, 46
	v_cmp_eq_u16_sdwa s[10:11], v32, v5 src0_sel:BYTE_0 src1_sel:DWORD
	s_mov_b64 s[4:5], -1
	s_mov_b64 s[12:13], 0
	s_and_b64 vcc, exec, s[10:11]
	s_mov_b64 s[10:11], 0
	s_cbranch_vccz .LBB9_645
; %bb.634:
	v_cvt_f32_f64_e32 v5, v[26:27]
	v_bfe_u32 v6, v5, 16, 1
	s_movk_i32 s4, 0x7fff
	v_add3_u32 v6, v5, v6, s4
	v_lshrrev_b32_e32 v6, 16, v6
	v_mov_b32_e32 v7, 0x7fc0
	v_cmp_o_f32_e32 vcc, v5, v5
	v_cndmask_b32_e32 v5, v7, v6, vcc
	global_store_dword v[2:3], v5, off
	s_mov_b64 s[4:5], 0
	s_mov_b64 s[10:11], -1
	s_branch .LBB9_645
.LBB9_635:
	s_mov_b64 s[10:11], 0
	s_cbranch_execnz .LBB9_716
.LBB9_636:
	s_andn2_b64 vcc, exec, s[10:11]
	s_cbranch_vccz .LBB9_754
	s_branch .LBB9_957
.LBB9_637:
	s_mov_b64 s[4:5], 0
	s_branch .LBB9_655
.LBB9_638:
	s_or_saveexec_b64 s[12:13], s[12:13]
                                        ; implicit-def: $sgpr14
	s_xor_b64 exec, exec, s[12:13]
	s_cbranch_execz .LBB9_540
.LBB9_639:
	s_mov_b32 s14, 0x46000000
	v_add_f32_e64 v6, |v5|, s14
	v_and_b32_e32 v6, 0xff, v6
	v_cmp_ne_u32_e32 vcc, 0, v6
	s_andn2_b64 s[10:11], s[10:11], exec
	s_and_b64 s[16:17], vcc, exec
	s_mov_b32 s14, 0
	s_or_b64 s[10:11], s[10:11], s[16:17]
	s_or_b64 exec, exec, s[12:13]
	v_mov_b32_e32 v7, s14
	s_and_saveexec_b64 s[12:13], s[10:11]
	s_cbranch_execnz .LBB9_541
	s_branch .LBB9_542
.LBB9_640:
	s_mov_b64 s[4:5], 0
	s_branch .LBB9_651
.LBB9_641:
	s_or_b64 s[6:7], s[42:43], exec
	s_trap 2
	s_cbranch_execz .LBB9_588
	s_branch .LBB9_589
.LBB9_642:
	s_or_saveexec_b64 s[10:11], s[10:11]
                                        ; implicit-def: $sgpr12
	s_xor_b64 exec, exec, s[10:11]
	s_cbranch_execz .LBB9_553
.LBB9_643:
	s_mov_b32 s12, 0x42800000
	v_add_f32_e64 v6, |v5|, s12
	v_and_b32_e32 v6, 0xff, v6
	v_cmp_ne_u32_e32 vcc, 0, v6
	s_andn2_b64 s[8:9], s[8:9], exec
	s_and_b64 s[14:15], vcc, exec
	s_mov_b32 s12, 0
	s_or_b64 s[8:9], s[8:9], s[14:15]
	s_or_b64 exec, exec, s[10:11]
	v_mov_b32_e32 v7, s12
	s_and_saveexec_b64 s[10:11], s[8:9]
	s_cbranch_execnz .LBB9_554
	s_branch .LBB9_555
.LBB9_644:
	s_mov_b64 s[4:5], 0
.LBB9_645:
	s_and_b64 vcc, exec, s[12:13]
	s_cbranch_vccz .LBB9_650
; %bb.646:
	v_mov_b32_e32 v5, 44
	v_cmp_eq_u16_sdwa s[12:13], v32, v5 src0_sel:BYTE_0 src1_sel:DWORD
	s_mov_b64 s[4:5], -1
	s_and_b64 vcc, exec, s[12:13]
	s_cbranch_vccz .LBB9_650
; %bb.647:
	v_cvt_f32_f64_e32 v5, v[26:27]
	v_bfe_u32 v6, v5, 23, 8
	s_movk_i32 s4, 0xff
	v_cmp_ne_u32_e32 vcc, s4, v6
	v_mov_b32_e32 v7, 0xff
	s_and_saveexec_b64 s[10:11], vcc
; %bb.648:
	s_mov_b32 s4, 0x3fffff
	v_lshrrev_b32_e32 v7, 23, v5
	v_and_b32_e32 v8, 0x400000, v5
	v_and_or_b32 v5, v5, s4, v6
	v_cmp_ne_u32_e32 vcc, 0, v8
	v_cmp_ne_u32_e64 s[4:5], 0, v5
	s_and_b64 s[4:5], vcc, s[4:5]
	v_cndmask_b32_e64 v5, 0, 1, s[4:5]
	v_add_u32_e32 v7, v7, v5
; %bb.649:
	s_or_b64 exec, exec, s[10:11]
	s_mov_b64 s[4:5], 0
	s_mov_b64 s[10:11], -1
	global_store_byte v[2:3], v7, off
.LBB9_650:
	s_mov_b64 s[12:13], 0
.LBB9_651:
	s_and_b64 vcc, exec, s[12:13]
	s_cbranch_vccz .LBB9_654
; %bb.652:
	v_mov_b32_e32 v5, 29
	v_cmp_eq_u16_sdwa s[12:13], v32, v5 src0_sel:BYTE_0 src1_sel:DWORD
	s_mov_b64 s[4:5], -1
	s_and_b64 vcc, exec, s[12:13]
	s_cbranch_vccz .LBB9_654
; %bb.653:
	v_trunc_f64_e32 v[6:7], v[26:27]
	s_movk_i32 s4, 0xffe0
	v_ldexp_f64 v[8:9], v[6:7], s4
	v_floor_f64_e32 v[8:9], v[8:9]
	v_fmac_f64_e32 v[6:7], 0xc1f00000, v[8:9]
	v_cvt_u32_f64_e32 v11, v[8:9]
	v_cvt_u32_f64_e32 v10, v[6:7]
	global_store_dwordx2 v[2:3], v[10:11], off
	s_mov_b64 s[4:5], 0
	s_mov_b64 s[10:11], -1
.LBB9_654:
	s_mov_b64 s[12:13], 0
.LBB9_655:
	s_and_b64 vcc, exec, s[12:13]
	s_cbranch_vccz .LBB9_671
; %bb.656:
	v_mov_b32_e32 v5, 27
	v_cmp_lt_i16_sdwa s[12:13], v32, v5 src0_sel:BYTE_0 src1_sel:DWORD
	s_mov_b64 s[10:11], -1
	s_and_b64 vcc, exec, s[12:13]
	s_cbranch_vccnz .LBB9_662
; %bb.657:
	v_cmp_gt_i16_sdwa s[12:13], v32, v5 src0_sel:BYTE_0 src1_sel:DWORD
	s_and_b64 vcc, exec, s[12:13]
	v_cvt_u32_f64_e32 v5, v[26:27]
	s_cbranch_vccz .LBB9_659
; %bb.658:
	s_mov_b64 s[10:11], 0
	global_store_dword v[2:3], v5, off
.LBB9_659:
	s_andn2_b64 vcc, exec, s[10:11]
	s_cbranch_vccnz .LBB9_661
; %bb.660:
	global_store_short v[2:3], v5, off
.LBB9_661:
	s_mov_b64 s[10:11], 0
.LBB9_662:
	s_andn2_b64 vcc, exec, s[10:11]
	s_cbranch_vccnz .LBB9_670
; %bb.663:
	v_cvt_f32_f64_e32 v5, v[26:27]
	v_and_b32_e32 v6, 0x7fffffff, v5
	s_mov_b32 s10, 0x43800000
	v_cmp_gt_u32_e32 vcc, s10, v6
	v_mov_b32_e32 v7, 0x80
	s_and_saveexec_b64 s[10:11], vcc
	s_cbranch_execz .LBB9_669
; %bb.664:
	s_mov_b32 s12, 0x3bffffff
	v_cmp_lt_u32_e32 vcc, s12, v6
	s_mov_b64 s[12:13], 0
                                        ; implicit-def: $vgpr6
	s_and_saveexec_b64 s[14:15], vcc
	s_xor_b64 s[14:15], exec, s[14:15]
	s_cbranch_execz .LBB9_841
; %bb.665:
	v_bfe_u32 v6, v5, 20, 1
	s_mov_b32 s17, 0x487ffff
	v_add3_u32 v6, v5, v6, s17
	s_mov_b64 s[12:13], exec
	v_lshrrev_b32_e32 v6, 20, v6
	s_or_saveexec_b64 s[14:15], s[14:15]
                                        ; implicit-def: $sgpr17
	s_xor_b64 exec, exec, s[14:15]
	s_cbranch_execnz .LBB9_842
.LBB9_666:
	s_or_b64 exec, exec, s[14:15]
	v_mov_b32_e32 v7, s17
	s_and_saveexec_b64 s[14:15], s[12:13]
.LBB9_667:
	v_lshrrev_b32_e32 v5, 24, v5
	s_movk_i32 s12, 0x80
	v_and_or_b32 v7, v5, s12, v6
.LBB9_668:
	s_or_b64 exec, exec, s[14:15]
.LBB9_669:
	s_or_b64 exec, exec, s[10:11]
	global_store_byte v[2:3], v7, off
.LBB9_670:
	s_mov_b64 s[10:11], -1
.LBB9_671:
	s_mov_b64 s[12:13], 0
.LBB9_672:
	s_and_b64 vcc, exec, s[12:13]
	s_cbranch_vccz .LBB9_712
; %bb.673:
	v_mov_b32_e32 v5, 22
	v_cmp_gt_i16_sdwa s[12:13], v32, v5 src0_sel:BYTE_0 src1_sel:DWORD
	s_mov_b64 s[8:9], -1
	s_and_b64 vcc, exec, s[12:13]
	s_cbranch_vccz .LBB9_705
; %bb.674:
	v_mov_b32_e32 v5, 24
	v_cmp_lt_i16_sdwa s[10:11], v32, v5 src0_sel:BYTE_0 src1_sel:DWORD
	s_and_b64 vcc, exec, s[10:11]
	s_cbranch_vccnz .LBB9_694
; %bb.675:
	v_cmp_gt_i16_sdwa s[10:11], v32, v5 src0_sel:BYTE_0 src1_sel:DWORD
	s_and_b64 vcc, exec, s[10:11]
	s_cbranch_vccz .LBB9_683
; %bb.676:
	v_cvt_f32_f64_e32 v5, v[26:27]
	v_and_b32_e32 v6, 0x7fffffff, v5
	s_mov_b32 s8, 0x47800000
	v_cmp_gt_u32_e32 vcc, s8, v6
	v_mov_b32_e32 v7, 0x80
	s_and_saveexec_b64 s[8:9], vcc
	s_cbranch_execz .LBB9_682
; %bb.677:
	s_mov_b32 s10, 0x37ffffff
	v_cmp_lt_u32_e32 vcc, s10, v6
	s_mov_b64 s[10:11], 0
                                        ; implicit-def: $vgpr6
	s_and_saveexec_b64 s[12:13], vcc
	s_xor_b64 s[12:13], exec, s[12:13]
	s_cbranch_execz .LBB9_845
; %bb.678:
	v_bfe_u32 v6, v5, 21, 1
	s_mov_b32 s14, 0x88fffff
	v_add3_u32 v6, v5, v6, s14
	s_mov_b64 s[10:11], exec
	v_lshrrev_b32_e32 v6, 21, v6
	s_or_saveexec_b64 s[12:13], s[12:13]
                                        ; implicit-def: $sgpr14
	s_xor_b64 exec, exec, s[12:13]
	s_cbranch_execnz .LBB9_846
.LBB9_679:
	s_or_b64 exec, exec, s[12:13]
	v_mov_b32_e32 v7, s14
	s_and_saveexec_b64 s[12:13], s[10:11]
.LBB9_680:
	v_lshrrev_b32_e32 v5, 24, v5
	s_movk_i32 s10, 0x80
	v_and_or_b32 v7, v5, s10, v6
.LBB9_681:
	s_or_b64 exec, exec, s[12:13]
.LBB9_682:
	s_or_b64 exec, exec, s[8:9]
	s_mov_b64 s[8:9], 0
	global_store_byte v[2:3], v7, off
.LBB9_683:
	s_and_b64 vcc, exec, s[8:9]
	s_cbranch_vccz .LBB9_693
; %bb.684:
	v_cvt_f32_f64_e32 v5, v[26:27]
	v_and_b32_e32 v7, 0x7fffffff, v5
	s_mov_b32 s8, 0x43f00000
	v_cmp_gt_u32_e32 vcc, s8, v7
                                        ; implicit-def: $vgpr6
	s_and_saveexec_b64 s[8:9], vcc
	s_xor_b64 s[8:9], exec, s[8:9]
	s_cbranch_execz .LBB9_690
; %bb.685:
	s_mov_b32 s10, 0x3c7fffff
	v_cmp_lt_u32_e32 vcc, s10, v7
                                        ; implicit-def: $vgpr6
	s_and_saveexec_b64 s[10:11], vcc
	s_xor_b64 s[10:11], exec, s[10:11]
; %bb.686:
	v_bfe_u32 v6, v5, 20, 1
	s_mov_b32 s12, 0x407ffff
	v_add3_u32 v6, v5, v6, s12
	v_lshrrev_b32_e32 v7, 20, v6
	v_and_b32_e32 v6, 0xff00000, v6
	s_mov_b32 s12, 0x7f00000
	v_mov_b32_e32 v8, 0x7e
	v_cmp_ne_u32_e32 vcc, s12, v6
	v_cndmask_b32_e32 v6, v8, v7, vcc
; %bb.687:
	s_andn2_saveexec_b64 s[10:11], s[10:11]
; %bb.688:
	s_mov_b32 s12, 0x46800000
	v_add_f32_e64 v6, |v5|, s12
; %bb.689:
	s_or_b64 exec, exec, s[10:11]
                                        ; implicit-def: $vgpr7
.LBB9_690:
	s_andn2_saveexec_b64 s[8:9], s[8:9]
; %bb.691:
	s_mov_b32 s10, 0x7f800000
	v_mov_b32_e32 v6, 0x7e
	v_mov_b32_e32 v8, 0x7f
	v_cmp_lt_u32_e32 vcc, s10, v7
	v_cndmask_b32_e32 v6, v6, v8, vcc
; %bb.692:
	s_or_b64 exec, exec, s[8:9]
	v_lshrrev_b32_e32 v5, 24, v5
	s_movk_i32 s8, 0x80
	v_and_or_b32 v5, v5, s8, v6
	global_store_byte v[2:3], v5, off
.LBB9_693:
	s_mov_b64 s[8:9], 0
.LBB9_694:
	s_andn2_b64 vcc, exec, s[8:9]
	s_cbranch_vccnz .LBB9_704
; %bb.695:
	v_cvt_f32_f64_e32 v5, v[26:27]
	v_and_b32_e32 v7, 0x7fffffff, v5
	s_mov_b32 s8, 0x47800000
	v_cmp_gt_u32_e32 vcc, s8, v7
                                        ; implicit-def: $vgpr6
	s_and_saveexec_b64 s[8:9], vcc
	s_xor_b64 s[8:9], exec, s[8:9]
	s_cbranch_execz .LBB9_701
; %bb.696:
	s_mov_b32 s10, 0x387fffff
	v_cmp_lt_u32_e32 vcc, s10, v7
                                        ; implicit-def: $vgpr6
	s_and_saveexec_b64 s[10:11], vcc
	s_xor_b64 s[10:11], exec, s[10:11]
; %bb.697:
	v_bfe_u32 v6, v5, 21, 1
	s_mov_b32 s12, 0x80fffff
	v_add3_u32 v6, v5, v6, s12
	v_lshrrev_b32_e32 v6, 21, v6
; %bb.698:
	s_andn2_saveexec_b64 s[10:11], s[10:11]
; %bb.699:
	s_mov_b32 s12, 0x43000000
	v_add_f32_e64 v6, |v5|, s12
; %bb.700:
	s_or_b64 exec, exec, s[10:11]
                                        ; implicit-def: $vgpr7
.LBB9_701:
	s_andn2_saveexec_b64 s[8:9], s[8:9]
; %bb.702:
	s_mov_b32 s10, 0x7f800000
	v_mov_b32_e32 v6, 0x7c
	v_mov_b32_e32 v8, 0x7f
	v_cmp_lt_u32_e32 vcc, s10, v7
	v_cndmask_b32_e32 v6, v6, v8, vcc
; %bb.703:
	s_or_b64 exec, exec, s[8:9]
	v_lshrrev_b32_e32 v5, 24, v5
	s_movk_i32 s8, 0x80
	v_and_or_b32 v5, v5, s8, v6
	global_store_byte v[2:3], v5, off
.LBB9_704:
	s_mov_b64 s[8:9], 0
	s_mov_b64 s[10:11], -1
.LBB9_705:
	s_andn2_b64 vcc, exec, s[8:9]
	s_mov_b64 s[8:9], 0
	s_cbranch_vccnz .LBB9_712
; %bb.706:
	v_mov_b32_e32 v5, 14
	v_cmp_gt_i16_sdwa s[8:9], v32, v5 src0_sel:BYTE_0 src1_sel:DWORD
	s_mov_b64 s[12:13], -1
	s_and_b64 vcc, exec, s[8:9]
	s_cbranch_vccz .LBB9_710
; %bb.707:
	v_mov_b32_e32 v5, 15
	v_cmp_eq_u16_sdwa s[8:9], v32, v5 src0_sel:BYTE_0 src1_sel:DWORD
	s_mov_b64 s[4:5], -1
	s_and_b64 vcc, exec, s[8:9]
	s_cbranch_vccz .LBB9_709
; %bb.708:
	v_cvt_f32_f64_e32 v5, v[26:27]
	v_bfe_u32 v6, v5, 16, 1
	s_movk_i32 s4, 0x7fff
	v_add3_u32 v6, v5, v6, s4
	v_lshrrev_b32_e32 v6, 16, v6
	v_mov_b32_e32 v7, 0x7fc0
	v_cmp_o_f32_e32 vcc, v5, v5
	v_cndmask_b32_e32 v5, v7, v6, vcc
	global_store_short v[2:3], v5, off
	s_mov_b64 s[4:5], 0
	s_mov_b64 s[10:11], -1
.LBB9_709:
	s_mov_b64 s[12:13], 0
.LBB9_710:
	s_mov_b64 s[8:9], 0
	s_and_b64 vcc, exec, s[12:13]
	s_cbranch_vccz .LBB9_712
; %bb.711:
	v_mov_b32_e32 v5, 11
	v_cmp_ne_u16_sdwa s[4:5], v32, v5 src0_sel:BYTE_0 src1_sel:DWORD
	s_mov_b64 s[8:9], -1
.LBB9_712:
	s_and_b64 vcc, exec, s[4:5]
	s_cbranch_vccnz .LBB9_844
; %bb.713:
	s_andn2_b64 vcc, exec, s[8:9]
	s_cbranch_vccnz .LBB9_715
.LBB9_714:
	v_cmp_neq_f64_e32 vcc, 0, v[26:27]
	v_cndmask_b32_e64 v5, 0, 1, vcc
	s_mov_b64 s[10:11], -1
	global_store_byte v[2:3], v5, off
.LBB9_715:
	s_branch .LBB9_636
.LBB9_716:
	v_mov_b32_e32 v5, 5
	v_cmp_lt_i16_sdwa s[8:9], v32, v5 src0_sel:BYTE_0 src1_sel:DWORD
	s_mov_b64 s[4:5], -1
	s_and_b64 vcc, exec, s[8:9]
	s_cbranch_vccnz .LBB9_737
; %bb.717:
	v_mov_b32_e32 v5, 8
	v_cmp_lt_i16_sdwa s[8:9], v32, v5 src0_sel:BYTE_0 src1_sel:DWORD
	s_and_b64 vcc, exec, s[8:9]
	s_cbranch_vccnz .LBB9_727
; %bb.718:
	v_mov_b32_e32 v5, 9
	v_cmp_lt_i16_sdwa s[8:9], v32, v5 src0_sel:BYTE_0 src1_sel:DWORD
	s_and_b64 vcc, exec, s[8:9]
	s_cbranch_vccnz .LBB9_724
; %bb.719:
	v_cmp_gt_i16_sdwa s[8:9], v32, v5 src0_sel:BYTE_0 src1_sel:DWORD
	s_and_b64 vcc, exec, s[8:9]
	s_cbranch_vccz .LBB9_721
; %bb.720:
	v_mov_b32_e32 v28, 0
	v_mov_b32_e32 v29, v28
	global_store_dwordx4 v[2:3], v[26:29], off
	s_mov_b64 s[4:5], 0
.LBB9_721:
	s_andn2_b64 vcc, exec, s[4:5]
	s_cbranch_vccnz .LBB9_723
; %bb.722:
	v_cvt_f32_f64_e32 v6, v[26:27]
	v_mov_b32_e32 v7, 0
	global_store_dwordx2 v[2:3], v[6:7], off
.LBB9_723:
	s_mov_b64 s[4:5], 0
.LBB9_724:
	s_andn2_b64 vcc, exec, s[4:5]
	s_cbranch_vccnz .LBB9_726
; %bb.725:
	v_cvt_f32_f64_e32 v5, v[26:27]
	v_cvt_f16_f32_e32 v5, v5
	global_store_dword v[2:3], v5, off
.LBB9_726:
	s_mov_b64 s[4:5], 0
.LBB9_727:
	s_andn2_b64 vcc, exec, s[4:5]
	s_cbranch_vccnz .LBB9_736
; %bb.728:
	v_mov_b32_e32 v5, 6
	v_cmp_lt_i16_sdwa s[8:9], v32, v5 src0_sel:BYTE_0 src1_sel:DWORD
	s_mov_b64 s[4:5], -1
	s_and_b64 vcc, exec, s[8:9]
	s_cbranch_vccnz .LBB9_734
; %bb.729:
	v_cmp_gt_i16_sdwa s[8:9], v32, v5 src0_sel:BYTE_0 src1_sel:DWORD
	s_and_b64 vcc, exec, s[8:9]
	s_cbranch_vccz .LBB9_731
; %bb.730:
	global_store_dwordx2 v[2:3], v[26:27], off
	s_mov_b64 s[4:5], 0
.LBB9_731:
	s_andn2_b64 vcc, exec, s[4:5]
	s_cbranch_vccnz .LBB9_733
; %bb.732:
	v_cvt_f32_f64_e32 v5, v[26:27]
	global_store_dword v[2:3], v5, off
.LBB9_733:
	s_mov_b64 s[4:5], 0
.LBB9_734:
	s_andn2_b64 vcc, exec, s[4:5]
	s_cbranch_vccnz .LBB9_736
; %bb.735:
	v_cvt_f32_f64_e32 v5, v[26:27]
	v_cvt_f16_f32_e32 v5, v5
	global_store_short v[2:3], v5, off
.LBB9_736:
	s_mov_b64 s[4:5], 0
.LBB9_737:
	s_andn2_b64 vcc, exec, s[4:5]
	s_cbranch_vccnz .LBB9_753
; %bb.738:
	v_mov_b32_e32 v5, 2
	v_cmp_lt_i16_sdwa s[8:9], v32, v5 src0_sel:BYTE_0 src1_sel:DWORD
	s_mov_b64 s[4:5], -1
	s_and_b64 vcc, exec, s[8:9]
	s_cbranch_vccnz .LBB9_748
; %bb.739:
	v_mov_b32_e32 v5, 3
	v_cmp_lt_i16_sdwa s[8:9], v32, v5 src0_sel:BYTE_0 src1_sel:DWORD
	s_and_b64 vcc, exec, s[8:9]
	s_cbranch_vccnz .LBB9_745
; %bb.740:
	v_cmp_gt_i16_sdwa s[8:9], v32, v5 src0_sel:BYTE_0 src1_sel:DWORD
	s_and_b64 vcc, exec, s[8:9]
	s_cbranch_vccz .LBB9_742
; %bb.741:
	v_trunc_f64_e32 v[6:7], v[26:27]
	s_movk_i32 s4, 0xffe0
	v_ldexp_f64 v[8:9], v[6:7], s4
	v_floor_f64_e32 v[8:9], v[8:9]
	v_fmac_f64_e32 v[6:7], 0xc1f00000, v[8:9]
	v_cvt_i32_f64_e32 v11, v[8:9]
	v_cvt_u32_f64_e32 v10, v[6:7]
	global_store_dwordx2 v[2:3], v[10:11], off
	s_mov_b64 s[4:5], 0
.LBB9_742:
	s_andn2_b64 vcc, exec, s[4:5]
	s_cbranch_vccnz .LBB9_744
; %bb.743:
	v_cvt_i32_f64_e32 v5, v[26:27]
	global_store_dword v[2:3], v5, off
.LBB9_744:
	s_mov_b64 s[4:5], 0
.LBB9_745:
	s_andn2_b64 vcc, exec, s[4:5]
	s_cbranch_vccnz .LBB9_747
; %bb.746:
	v_cvt_i32_f64_e32 v5, v[26:27]
	global_store_short v[2:3], v5, off
.LBB9_747:
	s_mov_b64 s[4:5], 0
.LBB9_748:
	s_andn2_b64 vcc, exec, s[4:5]
	s_cbranch_vccnz .LBB9_753
; %bb.749:
	v_mov_b32_e32 v5, 0
	v_cmp_gt_i16_sdwa s[8:9], v32, v5 src0_sel:BYTE_0 src1_sel:DWORD
	s_mov_b64 s[4:5], -1
	s_and_b64 vcc, exec, s[8:9]
	s_cbranch_vccz .LBB9_751
; %bb.750:
	v_cvt_i32_f64_e32 v5, v[26:27]
	global_store_byte v[2:3], v5, off
	s_mov_b64 s[4:5], 0
.LBB9_751:
	s_andn2_b64 vcc, exec, s[4:5]
	s_cbranch_vccnz .LBB9_753
; %bb.752:
	v_trunc_f64_e32 v[6:7], v[26:27]
	s_movk_i32 s4, 0xffe0
	v_ldexp_f64 v[8:9], v[6:7], s4
	v_floor_f64_e32 v[8:9], v[8:9]
	v_fmac_f64_e32 v[6:7], 0xc1f00000, v[8:9]
	v_cvt_u32_f64_e32 v5, v[6:7]
	global_store_byte v[2:3], v5, off
.LBB9_753:
.LBB9_754:
	v_add_u32_e32 v4, s16, v4
	v_ashrrev_i32_e32 v3, 31, v4
	v_mov_b32_e32 v5, s37
	v_add_co_u32_e32 v2, vcc, s36, v4
	v_addc_co_u32_e32 v3, vcc, v5, v3, vcc
	v_mov_b32_e32 v5, 11
	v_cmp_lt_i16_sdwa s[4:5], v32, v5 src0_sel:BYTE_0 src1_sel:DWORD
	s_and_b64 vcc, exec, s[4:5]
	s_cbranch_vccnz .LBB9_761
; %bb.755:
	v_mov_b32_e32 v5, 25
	v_cmp_gt_i16_sdwa s[4:5], v32, v5 src0_sel:BYTE_0 src1_sel:DWORD
	s_mov_b64 s[12:13], -1
	s_mov_b64 s[8:9], 0
	s_and_b64 vcc, exec, s[4:5]
	s_mov_b64 s[10:11], 0
	s_mov_b64 s[4:5], 0
	s_cbranch_vccz .LBB9_875
; %bb.756:
	v_mov_b32_e32 v5, 28
	v_cmp_gt_i16_sdwa s[4:5], v32, v5 src0_sel:BYTE_0 src1_sel:DWORD
	s_and_b64 vcc, exec, s[4:5]
	s_cbranch_vccz .LBB9_840
; %bb.757:
	v_mov_b32_e32 v5, 43
	v_cmp_gt_i16_sdwa s[4:5], v32, v5 src0_sel:BYTE_0 src1_sel:DWORD
	s_and_b64 vcc, exec, s[4:5]
	;; [unrolled: 5-line block ×3, first 2 shown]
	s_cbranch_vccz .LBB9_847
; %bb.759:
	v_mov_b32_e32 v5, 46
	v_cmp_eq_u16_sdwa s[10:11], v32, v5 src0_sel:BYTE_0 src1_sel:DWORD
	s_mov_b64 s[4:5], -1
	s_mov_b64 s[12:13], 0
	s_and_b64 vcc, exec, s[10:11]
	s_mov_b64 s[10:11], 0
	s_cbranch_vccz .LBB9_848
; %bb.760:
	v_cvt_f32_f64_e32 v5, v[24:25]
	v_bfe_u32 v6, v5, 16, 1
	s_movk_i32 s4, 0x7fff
	v_add3_u32 v6, v5, v6, s4
	v_lshrrev_b32_e32 v6, 16, v6
	v_mov_b32_e32 v7, 0x7fc0
	v_cmp_o_f32_e32 vcc, v5, v5
	v_cndmask_b32_e32 v5, v7, v6, vcc
	global_store_dword v[2:3], v5, off
	s_mov_b64 s[4:5], 0
	s_mov_b64 s[10:11], -1
	s_branch .LBB9_848
.LBB9_761:
	s_mov_b64 s[10:11], 0
	s_cbranch_execnz .LBB9_919
.LBB9_762:
	s_andn2_b64 vcc, exec, s[10:11]
	s_cbranch_vccnz .LBB9_957
.LBB9_763:
	v_add_u32_e32 v2, s16, v4
	v_ashrrev_i32_e32 v3, 31, v2
	v_mov_b32_e32 v5, s37
	v_add_co_u32_e32 v4, vcc, s36, v2
	v_addc_co_u32_e32 v5, vcc, v5, v3, vcc
	v_and_b32_e32 v6, 0xff, v32
	v_cmp_gt_i16_e32 vcc, 11, v6
	s_cbranch_vccnz .LBB9_839
; %bb.764:
	v_cmp_lt_i16_e32 vcc, 25, v6
	s_mov_b64 s[10:11], -1
	s_mov_b64 s[8:9], 0
	s_mov_b64 s[4:5], 0
	s_cbranch_vccz .LBB9_797
; %bb.765:
	v_cmp_lt_i16_e32 vcc, 28, v6
	s_cbranch_vccz .LBB9_781
; %bb.766:
	v_cmp_lt_i16_e32 vcc, 43, v6
	;; [unrolled: 3-line block ×3, first 2 shown]
	s_cbranch_vccz .LBB9_771
; %bb.768:
	v_cmp_eq_u16_e32 vcc, 46, v6
	s_mov_b64 s[4:5], -1
	s_cbranch_vccz .LBB9_770
; %bb.769:
	v_cvt_f32_f64_e32 v2, v[0:1]
	v_bfe_u32 v3, v2, 16, 1
	s_movk_i32 s4, 0x7fff
	v_add3_u32 v3, v2, v3, s4
	v_lshrrev_b32_e32 v3, 16, v3
	v_mov_b32_e32 v7, 0x7fc0
	v_cmp_o_f32_e32 vcc, v2, v2
	v_cndmask_b32_e32 v2, v7, v3, vcc
	global_store_dword v[4:5], v2, off
	s_mov_b64 s[4:5], 0
.LBB9_770:
	s_mov_b64 s[10:11], 0
.LBB9_771:
	s_and_b64 vcc, exec, s[10:11]
	s_cbranch_vccz .LBB9_776
; %bb.772:
	v_cmp_eq_u16_e32 vcc, 44, v6
	s_mov_b64 s[4:5], -1
	s_cbranch_vccz .LBB9_776
; %bb.773:
	v_cvt_f32_f64_e32 v2, v[0:1]
	v_bfe_u32 v3, v2, 23, 8
	s_movk_i32 s4, 0xff
	v_cmp_ne_u32_e32 vcc, s4, v3
	v_mov_b32_e32 v7, 0xff
	s_and_saveexec_b64 s[10:11], vcc
; %bb.774:
	s_mov_b32 s4, 0x3fffff
	v_lshrrev_b32_e32 v7, 23, v2
	v_and_b32_e32 v8, 0x400000, v2
	v_and_or_b32 v2, v2, s4, v3
	v_cmp_ne_u32_e32 vcc, 0, v8
	v_cmp_ne_u32_e64 s[4:5], 0, v2
	s_and_b64 s[4:5], vcc, s[4:5]
	v_cndmask_b32_e64 v2, 0, 1, s[4:5]
	v_add_u32_e32 v7, v7, v2
; %bb.775:
	s_or_b64 exec, exec, s[10:11]
	s_mov_b64 s[4:5], 0
	global_store_byte v[4:5], v7, off
.LBB9_776:
	s_mov_b64 s[10:11], 0
.LBB9_777:
	s_and_b64 vcc, exec, s[10:11]
	s_cbranch_vccz .LBB9_780
; %bb.778:
	v_cmp_eq_u16_e32 vcc, 29, v6
	s_mov_b64 s[4:5], -1
	s_cbranch_vccz .LBB9_780
; %bb.779:
	v_trunc_f64_e32 v[2:3], v[0:1]
	s_movk_i32 s4, 0xffe0
	v_ldexp_f64 v[8:9], v[2:3], s4
	v_floor_f64_e32 v[8:9], v[8:9]
	v_fmac_f64_e32 v[2:3], 0xc1f00000, v[8:9]
	v_cvt_u32_f64_e32 v11, v[8:9]
	v_cvt_u32_f64_e32 v10, v[2:3]
	global_store_dwordx2 v[4:5], v[10:11], off
	s_mov_b64 s[4:5], 0
.LBB9_780:
	s_mov_b64 s[10:11], 0
.LBB9_781:
	s_and_b64 vcc, exec, s[10:11]
	s_cbranch_vccz .LBB9_796
; %bb.782:
	v_cmp_gt_i16_e32 vcc, 27, v6
	s_mov_b64 s[10:11], -1
	s_cbranch_vccnz .LBB9_788
; %bb.783:
	v_cmp_lt_i16_e32 vcc, 27, v6
	v_cvt_u32_f64_e32 v2, v[0:1]
	s_cbranch_vccz .LBB9_785
; %bb.784:
	global_store_dword v[4:5], v2, off
	s_mov_b64 s[10:11], 0
.LBB9_785:
	s_andn2_b64 vcc, exec, s[10:11]
	s_cbranch_vccnz .LBB9_787
; %bb.786:
	global_store_short v[4:5], v2, off
.LBB9_787:
	s_mov_b64 s[10:11], 0
.LBB9_788:
	s_andn2_b64 vcc, exec, s[10:11]
	s_cbranch_vccnz .LBB9_796
; %bb.789:
	v_cvt_f32_f64_e32 v2, v[0:1]
	v_and_b32_e32 v3, 0x7fffffff, v2
	s_mov_b32 s10, 0x43800000
	v_cmp_gt_u32_e32 vcc, s10, v3
	v_mov_b32_e32 v7, 0x80
	s_and_saveexec_b64 s[10:11], vcc
	s_cbranch_execz .LBB9_795
; %bb.790:
	s_mov_b32 s12, 0x3bffffff
	v_cmp_lt_u32_e32 vcc, s12, v3
	s_mov_b64 s[12:13], 0
                                        ; implicit-def: $vgpr3
	s_and_saveexec_b64 s[14:15], vcc
	s_xor_b64 s[14:15], exec, s[14:15]
	s_cbranch_execz .LBB9_1007
; %bb.791:
	v_bfe_u32 v3, v2, 20, 1
	s_mov_b32 s16, 0x487ffff
	v_add3_u32 v3, v2, v3, s16
	s_mov_b64 s[12:13], exec
	v_lshrrev_b32_e32 v3, 20, v3
	s_or_saveexec_b64 s[14:15], s[14:15]
                                        ; implicit-def: $sgpr16
	s_xor_b64 exec, exec, s[14:15]
	s_cbranch_execnz .LBB9_1008
.LBB9_792:
	s_or_b64 exec, exec, s[14:15]
	v_mov_b32_e32 v7, s16
	s_and_saveexec_b64 s[14:15], s[12:13]
.LBB9_793:
	v_lshrrev_b32_e32 v2, 24, v2
	s_movk_i32 s12, 0x80
	v_and_or_b32 v7, v2, s12, v3
.LBB9_794:
	s_or_b64 exec, exec, s[14:15]
.LBB9_795:
	s_or_b64 exec, exec, s[10:11]
	global_store_byte v[4:5], v7, off
.LBB9_796:
	s_mov_b64 s[10:11], 0
.LBB9_797:
	s_and_b64 vcc, exec, s[10:11]
	s_cbranch_vccz .LBB9_837
; %bb.798:
	v_cmp_lt_i16_e32 vcc, 22, v6
	s_mov_b64 s[8:9], -1
	s_cbranch_vccz .LBB9_830
; %bb.799:
	v_cmp_gt_i16_e32 vcc, 24, v6
	s_cbranch_vccnz .LBB9_819
; %bb.800:
	v_cmp_lt_i16_e32 vcc, 24, v6
	s_cbranch_vccz .LBB9_808
; %bb.801:
	v_cvt_f32_f64_e32 v2, v[0:1]
	v_and_b32_e32 v3, 0x7fffffff, v2
	s_mov_b32 s8, 0x47800000
	v_cmp_gt_u32_e32 vcc, s8, v3
	v_mov_b32_e32 v7, 0x80
	s_and_saveexec_b64 s[8:9], vcc
	s_cbranch_execz .LBB9_807
; %bb.802:
	s_mov_b32 s10, 0x37ffffff
	v_cmp_lt_u32_e32 vcc, s10, v3
	s_mov_b64 s[10:11], 0
                                        ; implicit-def: $vgpr3
	s_and_saveexec_b64 s[12:13], vcc
	s_xor_b64 s[12:13], exec, s[12:13]
	s_cbranch_execz .LBB9_1016
; %bb.803:
	v_bfe_u32 v3, v2, 21, 1
	s_mov_b32 s14, 0x88fffff
	v_add3_u32 v3, v2, v3, s14
	s_mov_b64 s[10:11], exec
	v_lshrrev_b32_e32 v3, 21, v3
	s_or_saveexec_b64 s[12:13], s[12:13]
                                        ; implicit-def: $sgpr14
	s_xor_b64 exec, exec, s[12:13]
	s_cbranch_execnz .LBB9_1017
.LBB9_804:
	s_or_b64 exec, exec, s[12:13]
	v_mov_b32_e32 v7, s14
	s_and_saveexec_b64 s[12:13], s[10:11]
.LBB9_805:
	v_lshrrev_b32_e32 v2, 24, v2
	s_movk_i32 s10, 0x80
	v_and_or_b32 v7, v2, s10, v3
.LBB9_806:
	s_or_b64 exec, exec, s[12:13]
.LBB9_807:
	s_or_b64 exec, exec, s[8:9]
	s_mov_b64 s[8:9], 0
	global_store_byte v[4:5], v7, off
.LBB9_808:
	s_and_b64 vcc, exec, s[8:9]
	s_cbranch_vccz .LBB9_818
; %bb.809:
	v_cvt_f32_f64_e32 v2, v[0:1]
	v_and_b32_e32 v7, 0x7fffffff, v2
	s_mov_b32 s8, 0x43f00000
	v_cmp_gt_u32_e32 vcc, s8, v7
                                        ; implicit-def: $vgpr3
	s_and_saveexec_b64 s[8:9], vcc
	s_xor_b64 s[8:9], exec, s[8:9]
	s_cbranch_execz .LBB9_815
; %bb.810:
	s_mov_b32 s10, 0x3c7fffff
	v_cmp_lt_u32_e32 vcc, s10, v7
                                        ; implicit-def: $vgpr3
	s_and_saveexec_b64 s[10:11], vcc
	s_xor_b64 s[10:11], exec, s[10:11]
; %bb.811:
	v_bfe_u32 v3, v2, 20, 1
	s_mov_b32 s12, 0x407ffff
	v_add3_u32 v3, v2, v3, s12
	v_lshrrev_b32_e32 v7, 20, v3
	v_and_b32_e32 v3, 0xff00000, v3
	s_mov_b32 s12, 0x7f00000
	v_mov_b32_e32 v8, 0x7e
	v_cmp_ne_u32_e32 vcc, s12, v3
	v_cndmask_b32_e32 v3, v8, v7, vcc
; %bb.812:
	s_andn2_saveexec_b64 s[10:11], s[10:11]
; %bb.813:
	s_mov_b32 s12, 0x46800000
	v_add_f32_e64 v3, |v2|, s12
; %bb.814:
	s_or_b64 exec, exec, s[10:11]
                                        ; implicit-def: $vgpr7
.LBB9_815:
	s_andn2_saveexec_b64 s[8:9], s[8:9]
; %bb.816:
	s_mov_b32 s10, 0x7f800000
	v_mov_b32_e32 v3, 0x7e
	v_mov_b32_e32 v8, 0x7f
	v_cmp_lt_u32_e32 vcc, s10, v7
	v_cndmask_b32_e32 v3, v3, v8, vcc
; %bb.817:
	s_or_b64 exec, exec, s[8:9]
	v_lshrrev_b32_e32 v2, 24, v2
	s_movk_i32 s8, 0x80
	v_and_or_b32 v2, v2, s8, v3
	global_store_byte v[4:5], v2, off
.LBB9_818:
	s_mov_b64 s[8:9], 0
.LBB9_819:
	s_andn2_b64 vcc, exec, s[8:9]
	s_cbranch_vccnz .LBB9_829
; %bb.820:
	v_cvt_f32_f64_e32 v2, v[0:1]
	v_and_b32_e32 v7, 0x7fffffff, v2
	s_mov_b32 s8, 0x47800000
	v_cmp_gt_u32_e32 vcc, s8, v7
                                        ; implicit-def: $vgpr3
	s_and_saveexec_b64 s[8:9], vcc
	s_xor_b64 s[8:9], exec, s[8:9]
	s_cbranch_execz .LBB9_826
; %bb.821:
	s_mov_b32 s10, 0x387fffff
	v_cmp_lt_u32_e32 vcc, s10, v7
                                        ; implicit-def: $vgpr3
	s_and_saveexec_b64 s[10:11], vcc
	s_xor_b64 s[10:11], exec, s[10:11]
; %bb.822:
	v_bfe_u32 v3, v2, 21, 1
	s_mov_b32 s12, 0x80fffff
	v_add3_u32 v3, v2, v3, s12
	v_lshrrev_b32_e32 v3, 21, v3
; %bb.823:
	s_andn2_saveexec_b64 s[10:11], s[10:11]
; %bb.824:
	s_mov_b32 s12, 0x43000000
	v_add_f32_e64 v3, |v2|, s12
; %bb.825:
	s_or_b64 exec, exec, s[10:11]
                                        ; implicit-def: $vgpr7
.LBB9_826:
	s_andn2_saveexec_b64 s[8:9], s[8:9]
; %bb.827:
	s_mov_b32 s10, 0x7f800000
	v_mov_b32_e32 v3, 0x7c
	v_mov_b32_e32 v8, 0x7f
	v_cmp_lt_u32_e32 vcc, s10, v7
	v_cndmask_b32_e32 v3, v3, v8, vcc
; %bb.828:
	s_or_b64 exec, exec, s[8:9]
	v_lshrrev_b32_e32 v2, 24, v2
	s_movk_i32 s8, 0x80
	v_and_or_b32 v2, v2, s8, v3
	global_store_byte v[4:5], v2, off
.LBB9_829:
	s_mov_b64 s[8:9], 0
.LBB9_830:
	s_andn2_b64 vcc, exec, s[8:9]
	s_mov_b64 s[8:9], 0
	s_cbranch_vccnz .LBB9_837
; %bb.831:
	v_cmp_lt_i16_e32 vcc, 14, v6
	s_mov_b64 s[10:11], -1
	s_cbranch_vccz .LBB9_835
; %bb.832:
	v_cmp_eq_u16_e32 vcc, 15, v6
	s_mov_b64 s[4:5], -1
	s_cbranch_vccz .LBB9_834
; %bb.833:
	v_cvt_f32_f64_e32 v2, v[0:1]
	v_bfe_u32 v3, v2, 16, 1
	s_movk_i32 s4, 0x7fff
	v_add3_u32 v3, v2, v3, s4
	v_lshrrev_b32_e32 v3, 16, v3
	v_mov_b32_e32 v7, 0x7fc0
	v_cmp_o_f32_e32 vcc, v2, v2
	v_cndmask_b32_e32 v2, v7, v3, vcc
	global_store_short v[4:5], v2, off
	s_mov_b64 s[4:5], 0
.LBB9_834:
	s_mov_b64 s[10:11], 0
.LBB9_835:
	s_and_b64 vcc, exec, s[10:11]
	s_cbranch_vccz .LBB9_837
; %bb.836:
	v_cmp_ne_u16_e64 s[4:5], 11, v6
	s_mov_b64 s[8:9], -1
.LBB9_837:
	s_and_b64 vcc, exec, s[4:5]
	s_cbranch_vccnz .LBB9_1011
.LBB9_838:
	s_mov_b64 s[4:5], 0
	s_branch .LBB9_958
.LBB9_839:
	s_mov_b64 s[8:9], 0
	s_mov_b64 s[4:5], -1
	s_branch .LBB9_958
.LBB9_840:
	s_mov_b64 s[4:5], 0
	s_branch .LBB9_858
.LBB9_841:
	s_or_saveexec_b64 s[14:15], s[14:15]
                                        ; implicit-def: $sgpr17
	s_xor_b64 exec, exec, s[14:15]
	s_cbranch_execz .LBB9_666
.LBB9_842:
	s_mov_b32 s17, 0x46000000
	v_add_f32_e64 v6, |v5|, s17
	v_and_b32_e32 v6, 0xff, v6
	v_cmp_ne_u32_e32 vcc, 0, v6
	s_andn2_b64 s[12:13], s[12:13], exec
	s_and_b64 s[18:19], vcc, exec
	s_mov_b32 s17, 0
	s_or_b64 s[12:13], s[12:13], s[18:19]
	s_or_b64 exec, exec, s[14:15]
	v_mov_b32_e32 v7, s17
	s_and_saveexec_b64 s[14:15], s[12:13]
	s_cbranch_execnz .LBB9_667
	s_branch .LBB9_668
.LBB9_843:
	s_mov_b64 s[4:5], 0
	s_branch .LBB9_854
.LBB9_844:
	s_trap 2
	s_or_b64 s[6:7], s[6:7], exec
	s_cbranch_execz .LBB9_714
	s_branch .LBB9_715
.LBB9_845:
	s_or_saveexec_b64 s[12:13], s[12:13]
                                        ; implicit-def: $sgpr14
	s_xor_b64 exec, exec, s[12:13]
	s_cbranch_execz .LBB9_679
.LBB9_846:
	s_mov_b32 s14, 0x42800000
	v_add_f32_e64 v6, |v5|, s14
	v_and_b32_e32 v6, 0xff, v6
	v_cmp_ne_u32_e32 vcc, 0, v6
	s_andn2_b64 s[10:11], s[10:11], exec
	s_and_b64 s[18:19], vcc, exec
	s_mov_b32 s14, 0
	s_or_b64 s[10:11], s[10:11], s[18:19]
	s_or_b64 exec, exec, s[12:13]
	v_mov_b32_e32 v7, s14
	s_and_saveexec_b64 s[12:13], s[10:11]
	s_cbranch_execnz .LBB9_680
	s_branch .LBB9_681
.LBB9_847:
	s_mov_b64 s[4:5], 0
.LBB9_848:
	s_and_b64 vcc, exec, s[12:13]
	s_cbranch_vccz .LBB9_853
; %bb.849:
	v_mov_b32_e32 v5, 44
	v_cmp_eq_u16_sdwa s[12:13], v32, v5 src0_sel:BYTE_0 src1_sel:DWORD
	s_mov_b64 s[4:5], -1
	s_and_b64 vcc, exec, s[12:13]
	s_cbranch_vccz .LBB9_853
; %bb.850:
	v_cvt_f32_f64_e32 v5, v[24:25]
	v_bfe_u32 v6, v5, 23, 8
	s_movk_i32 s4, 0xff
	v_cmp_ne_u32_e32 vcc, s4, v6
	v_mov_b32_e32 v7, 0xff
	s_and_saveexec_b64 s[10:11], vcc
; %bb.851:
	s_mov_b32 s4, 0x3fffff
	v_lshrrev_b32_e32 v7, 23, v5
	v_and_b32_e32 v8, 0x400000, v5
	v_and_or_b32 v5, v5, s4, v6
	v_cmp_ne_u32_e32 vcc, 0, v8
	v_cmp_ne_u32_e64 s[4:5], 0, v5
	s_and_b64 s[4:5], vcc, s[4:5]
	v_cndmask_b32_e64 v5, 0, 1, s[4:5]
	v_add_u32_e32 v7, v7, v5
; %bb.852:
	s_or_b64 exec, exec, s[10:11]
	s_mov_b64 s[4:5], 0
	s_mov_b64 s[10:11], -1
	global_store_byte v[2:3], v7, off
.LBB9_853:
	s_mov_b64 s[12:13], 0
.LBB9_854:
	s_and_b64 vcc, exec, s[12:13]
	s_cbranch_vccz .LBB9_857
; %bb.855:
	v_mov_b32_e32 v5, 29
	v_cmp_eq_u16_sdwa s[12:13], v32, v5 src0_sel:BYTE_0 src1_sel:DWORD
	s_mov_b64 s[4:5], -1
	s_and_b64 vcc, exec, s[12:13]
	s_cbranch_vccz .LBB9_857
; %bb.856:
	v_trunc_f64_e32 v[6:7], v[24:25]
	s_movk_i32 s4, 0xffe0
	v_ldexp_f64 v[8:9], v[6:7], s4
	v_floor_f64_e32 v[8:9], v[8:9]
	v_fmac_f64_e32 v[6:7], 0xc1f00000, v[8:9]
	v_cvt_u32_f64_e32 v11, v[8:9]
	v_cvt_u32_f64_e32 v10, v[6:7]
	global_store_dwordx2 v[2:3], v[10:11], off
	s_mov_b64 s[4:5], 0
	s_mov_b64 s[10:11], -1
.LBB9_857:
	s_mov_b64 s[12:13], 0
.LBB9_858:
	s_and_b64 vcc, exec, s[12:13]
	s_cbranch_vccz .LBB9_874
; %bb.859:
	v_mov_b32_e32 v5, 27
	v_cmp_lt_i16_sdwa s[12:13], v32, v5 src0_sel:BYTE_0 src1_sel:DWORD
	s_mov_b64 s[10:11], -1
	s_and_b64 vcc, exec, s[12:13]
	s_cbranch_vccnz .LBB9_865
; %bb.860:
	v_cmp_gt_i16_sdwa s[12:13], v32, v5 src0_sel:BYTE_0 src1_sel:DWORD
	s_and_b64 vcc, exec, s[12:13]
	v_cvt_u32_f64_e32 v5, v[24:25]
	s_cbranch_vccz .LBB9_862
; %bb.861:
	s_mov_b64 s[10:11], 0
	global_store_dword v[2:3], v5, off
.LBB9_862:
	s_andn2_b64 vcc, exec, s[10:11]
	s_cbranch_vccnz .LBB9_864
; %bb.863:
	global_store_short v[2:3], v5, off
.LBB9_864:
	s_mov_b64 s[10:11], 0
.LBB9_865:
	s_andn2_b64 vcc, exec, s[10:11]
	s_cbranch_vccnz .LBB9_873
; %bb.866:
	v_cvt_f32_f64_e32 v5, v[24:25]
	v_and_b32_e32 v6, 0x7fffffff, v5
	s_mov_b32 s10, 0x43800000
	v_cmp_gt_u32_e32 vcc, s10, v6
	v_mov_b32_e32 v7, 0x80
	s_and_saveexec_b64 s[10:11], vcc
	s_cbranch_execz .LBB9_872
; %bb.867:
	s_mov_b32 s12, 0x3bffffff
	v_cmp_lt_u32_e32 vcc, s12, v6
	s_mov_b64 s[12:13], 0
                                        ; implicit-def: $vgpr6
	s_and_saveexec_b64 s[14:15], vcc
	s_xor_b64 s[14:15], exec, s[14:15]
	s_cbranch_execz .LBB9_1002
; %bb.868:
	v_bfe_u32 v6, v5, 20, 1
	s_mov_b32 s17, 0x487ffff
	v_add3_u32 v6, v5, v6, s17
	s_mov_b64 s[12:13], exec
	v_lshrrev_b32_e32 v6, 20, v6
	s_or_saveexec_b64 s[14:15], s[14:15]
                                        ; implicit-def: $sgpr17
	s_xor_b64 exec, exec, s[14:15]
	s_cbranch_execnz .LBB9_1003
.LBB9_869:
	s_or_b64 exec, exec, s[14:15]
	v_mov_b32_e32 v7, s17
	s_and_saveexec_b64 s[14:15], s[12:13]
.LBB9_870:
	v_lshrrev_b32_e32 v5, 24, v5
	s_movk_i32 s12, 0x80
	v_and_or_b32 v7, v5, s12, v6
.LBB9_871:
	s_or_b64 exec, exec, s[14:15]
.LBB9_872:
	s_or_b64 exec, exec, s[10:11]
	global_store_byte v[2:3], v7, off
.LBB9_873:
	s_mov_b64 s[10:11], -1
.LBB9_874:
	s_mov_b64 s[12:13], 0
.LBB9_875:
	s_and_b64 vcc, exec, s[12:13]
	s_cbranch_vccz .LBB9_915
; %bb.876:
	v_mov_b32_e32 v5, 22
	v_cmp_gt_i16_sdwa s[12:13], v32, v5 src0_sel:BYTE_0 src1_sel:DWORD
	s_mov_b64 s[8:9], -1
	s_and_b64 vcc, exec, s[12:13]
	s_cbranch_vccz .LBB9_908
; %bb.877:
	v_mov_b32_e32 v5, 24
	v_cmp_lt_i16_sdwa s[10:11], v32, v5 src0_sel:BYTE_0 src1_sel:DWORD
	s_and_b64 vcc, exec, s[10:11]
	s_cbranch_vccnz .LBB9_897
; %bb.878:
	v_cmp_gt_i16_sdwa s[10:11], v32, v5 src0_sel:BYTE_0 src1_sel:DWORD
	s_and_b64 vcc, exec, s[10:11]
	s_cbranch_vccz .LBB9_886
; %bb.879:
	v_cvt_f32_f64_e32 v5, v[24:25]
	v_and_b32_e32 v6, 0x7fffffff, v5
	s_mov_b32 s8, 0x47800000
	v_cmp_gt_u32_e32 vcc, s8, v6
	v_mov_b32_e32 v7, 0x80
	s_and_saveexec_b64 s[8:9], vcc
	s_cbranch_execz .LBB9_885
; %bb.880:
	s_mov_b32 s10, 0x37ffffff
	v_cmp_lt_u32_e32 vcc, s10, v6
	s_mov_b64 s[10:11], 0
                                        ; implicit-def: $vgpr6
	s_and_saveexec_b64 s[12:13], vcc
	s_xor_b64 s[12:13], exec, s[12:13]
	s_cbranch_execz .LBB9_1009
; %bb.881:
	v_bfe_u32 v6, v5, 21, 1
	s_mov_b32 s14, 0x88fffff
	v_add3_u32 v6, v5, v6, s14
	s_mov_b64 s[10:11], exec
	v_lshrrev_b32_e32 v6, 21, v6
	s_or_saveexec_b64 s[12:13], s[12:13]
                                        ; implicit-def: $sgpr14
	s_xor_b64 exec, exec, s[12:13]
	s_cbranch_execnz .LBB9_1010
.LBB9_882:
	s_or_b64 exec, exec, s[12:13]
	v_mov_b32_e32 v7, s14
	s_and_saveexec_b64 s[12:13], s[10:11]
.LBB9_883:
	v_lshrrev_b32_e32 v5, 24, v5
	s_movk_i32 s10, 0x80
	v_and_or_b32 v7, v5, s10, v6
.LBB9_884:
	s_or_b64 exec, exec, s[12:13]
.LBB9_885:
	s_or_b64 exec, exec, s[8:9]
	s_mov_b64 s[8:9], 0
	global_store_byte v[2:3], v7, off
.LBB9_886:
	s_and_b64 vcc, exec, s[8:9]
	s_cbranch_vccz .LBB9_896
; %bb.887:
	v_cvt_f32_f64_e32 v5, v[24:25]
	v_and_b32_e32 v7, 0x7fffffff, v5
	s_mov_b32 s8, 0x43f00000
	v_cmp_gt_u32_e32 vcc, s8, v7
                                        ; implicit-def: $vgpr6
	s_and_saveexec_b64 s[8:9], vcc
	s_xor_b64 s[8:9], exec, s[8:9]
	s_cbranch_execz .LBB9_893
; %bb.888:
	s_mov_b32 s10, 0x3c7fffff
	v_cmp_lt_u32_e32 vcc, s10, v7
                                        ; implicit-def: $vgpr6
	s_and_saveexec_b64 s[10:11], vcc
	s_xor_b64 s[10:11], exec, s[10:11]
; %bb.889:
	v_bfe_u32 v6, v5, 20, 1
	s_mov_b32 s12, 0x407ffff
	v_add3_u32 v6, v5, v6, s12
	v_lshrrev_b32_e32 v7, 20, v6
	v_and_b32_e32 v6, 0xff00000, v6
	s_mov_b32 s12, 0x7f00000
	v_mov_b32_e32 v8, 0x7e
	v_cmp_ne_u32_e32 vcc, s12, v6
	v_cndmask_b32_e32 v6, v8, v7, vcc
; %bb.890:
	s_andn2_saveexec_b64 s[10:11], s[10:11]
; %bb.891:
	s_mov_b32 s12, 0x46800000
	v_add_f32_e64 v6, |v5|, s12
; %bb.892:
	s_or_b64 exec, exec, s[10:11]
                                        ; implicit-def: $vgpr7
.LBB9_893:
	s_andn2_saveexec_b64 s[8:9], s[8:9]
; %bb.894:
	s_mov_b32 s10, 0x7f800000
	v_mov_b32_e32 v6, 0x7e
	v_mov_b32_e32 v8, 0x7f
	v_cmp_lt_u32_e32 vcc, s10, v7
	v_cndmask_b32_e32 v6, v6, v8, vcc
; %bb.895:
	s_or_b64 exec, exec, s[8:9]
	v_lshrrev_b32_e32 v5, 24, v5
	s_movk_i32 s8, 0x80
	v_and_or_b32 v5, v5, s8, v6
	global_store_byte v[2:3], v5, off
.LBB9_896:
	s_mov_b64 s[8:9], 0
.LBB9_897:
	s_andn2_b64 vcc, exec, s[8:9]
	s_cbranch_vccnz .LBB9_907
; %bb.898:
	v_cvt_f32_f64_e32 v5, v[24:25]
	v_and_b32_e32 v7, 0x7fffffff, v5
	s_mov_b32 s8, 0x47800000
	v_cmp_gt_u32_e32 vcc, s8, v7
                                        ; implicit-def: $vgpr6
	s_and_saveexec_b64 s[8:9], vcc
	s_xor_b64 s[8:9], exec, s[8:9]
	s_cbranch_execz .LBB9_904
; %bb.899:
	s_mov_b32 s10, 0x387fffff
	v_cmp_lt_u32_e32 vcc, s10, v7
                                        ; implicit-def: $vgpr6
	s_and_saveexec_b64 s[10:11], vcc
	s_xor_b64 s[10:11], exec, s[10:11]
; %bb.900:
	v_bfe_u32 v6, v5, 21, 1
	s_mov_b32 s12, 0x80fffff
	v_add3_u32 v6, v5, v6, s12
	v_lshrrev_b32_e32 v6, 21, v6
; %bb.901:
	s_andn2_saveexec_b64 s[10:11], s[10:11]
; %bb.902:
	s_mov_b32 s12, 0x43000000
	v_add_f32_e64 v6, |v5|, s12
; %bb.903:
	s_or_b64 exec, exec, s[10:11]
                                        ; implicit-def: $vgpr7
.LBB9_904:
	s_andn2_saveexec_b64 s[8:9], s[8:9]
; %bb.905:
	s_mov_b32 s10, 0x7f800000
	v_mov_b32_e32 v6, 0x7c
	v_mov_b32_e32 v8, 0x7f
	v_cmp_lt_u32_e32 vcc, s10, v7
	v_cndmask_b32_e32 v6, v6, v8, vcc
; %bb.906:
	s_or_b64 exec, exec, s[8:9]
	v_lshrrev_b32_e32 v5, 24, v5
	s_movk_i32 s8, 0x80
	v_and_or_b32 v5, v5, s8, v6
	global_store_byte v[2:3], v5, off
.LBB9_907:
	s_mov_b64 s[8:9], 0
	s_mov_b64 s[10:11], -1
.LBB9_908:
	s_andn2_b64 vcc, exec, s[8:9]
	s_mov_b64 s[8:9], 0
	s_cbranch_vccnz .LBB9_915
; %bb.909:
	v_mov_b32_e32 v5, 14
	v_cmp_gt_i16_sdwa s[8:9], v32, v5 src0_sel:BYTE_0 src1_sel:DWORD
	s_mov_b64 s[12:13], -1
	s_and_b64 vcc, exec, s[8:9]
	s_cbranch_vccz .LBB9_913
; %bb.910:
	v_mov_b32_e32 v5, 15
	v_cmp_eq_u16_sdwa s[8:9], v32, v5 src0_sel:BYTE_0 src1_sel:DWORD
	s_mov_b64 s[4:5], -1
	s_and_b64 vcc, exec, s[8:9]
	s_cbranch_vccz .LBB9_912
; %bb.911:
	v_cvt_f32_f64_e32 v5, v[24:25]
	v_bfe_u32 v6, v5, 16, 1
	s_movk_i32 s4, 0x7fff
	v_add3_u32 v6, v5, v6, s4
	v_lshrrev_b32_e32 v6, 16, v6
	v_mov_b32_e32 v7, 0x7fc0
	v_cmp_o_f32_e32 vcc, v5, v5
	v_cndmask_b32_e32 v5, v7, v6, vcc
	global_store_short v[2:3], v5, off
	s_mov_b64 s[4:5], 0
	s_mov_b64 s[10:11], -1
.LBB9_912:
	s_mov_b64 s[12:13], 0
.LBB9_913:
	s_mov_b64 s[8:9], 0
	s_and_b64 vcc, exec, s[12:13]
	s_cbranch_vccz .LBB9_915
; %bb.914:
	v_mov_b32_e32 v5, 11
	v_cmp_ne_u16_sdwa s[4:5], v32, v5 src0_sel:BYTE_0 src1_sel:DWORD
	s_mov_b64 s[8:9], -1
.LBB9_915:
	s_and_b64 vcc, exec, s[4:5]
	s_cbranch_vccnz .LBB9_1004
; %bb.916:
	s_andn2_b64 vcc, exec, s[8:9]
	s_cbranch_vccnz .LBB9_918
.LBB9_917:
	v_cmp_neq_f64_e32 vcc, 0, v[24:25]
	v_cndmask_b32_e64 v5, 0, 1, vcc
	s_mov_b64 s[10:11], -1
	global_store_byte v[2:3], v5, off
.LBB9_918:
	s_branch .LBB9_762
.LBB9_919:
	v_mov_b32_e32 v5, 5
	v_cmp_lt_i16_sdwa s[8:9], v32, v5 src0_sel:BYTE_0 src1_sel:DWORD
	s_mov_b64 s[4:5], -1
	s_and_b64 vcc, exec, s[8:9]
	s_cbranch_vccnz .LBB9_940
; %bb.920:
	v_mov_b32_e32 v5, 8
	v_cmp_lt_i16_sdwa s[8:9], v32, v5 src0_sel:BYTE_0 src1_sel:DWORD
	s_and_b64 vcc, exec, s[8:9]
	s_cbranch_vccnz .LBB9_930
; %bb.921:
	v_mov_b32_e32 v5, 9
	v_cmp_lt_i16_sdwa s[8:9], v32, v5 src0_sel:BYTE_0 src1_sel:DWORD
	s_and_b64 vcc, exec, s[8:9]
	s_cbranch_vccnz .LBB9_927
; %bb.922:
	v_cmp_gt_i16_sdwa s[8:9], v32, v5 src0_sel:BYTE_0 src1_sel:DWORD
	s_and_b64 vcc, exec, s[8:9]
	s_cbranch_vccz .LBB9_924
; %bb.923:
	v_mov_b32_e32 v26, 0
	v_mov_b32_e32 v27, v26
	global_store_dwordx4 v[2:3], v[24:27], off
	s_mov_b64 s[4:5], 0
.LBB9_924:
	s_andn2_b64 vcc, exec, s[4:5]
	s_cbranch_vccnz .LBB9_926
; %bb.925:
	v_cvt_f32_f64_e32 v6, v[24:25]
	v_mov_b32_e32 v7, 0
	global_store_dwordx2 v[2:3], v[6:7], off
.LBB9_926:
	s_mov_b64 s[4:5], 0
.LBB9_927:
	s_andn2_b64 vcc, exec, s[4:5]
	s_cbranch_vccnz .LBB9_929
; %bb.928:
	v_cvt_f32_f64_e32 v5, v[24:25]
	v_cvt_f16_f32_e32 v5, v5
	global_store_dword v[2:3], v5, off
.LBB9_929:
	s_mov_b64 s[4:5], 0
.LBB9_930:
	s_andn2_b64 vcc, exec, s[4:5]
	s_cbranch_vccnz .LBB9_939
; %bb.931:
	v_mov_b32_e32 v5, 6
	v_cmp_lt_i16_sdwa s[8:9], v32, v5 src0_sel:BYTE_0 src1_sel:DWORD
	s_mov_b64 s[4:5], -1
	s_and_b64 vcc, exec, s[8:9]
	s_cbranch_vccnz .LBB9_937
; %bb.932:
	v_cmp_gt_i16_sdwa s[8:9], v32, v5 src0_sel:BYTE_0 src1_sel:DWORD
	s_and_b64 vcc, exec, s[8:9]
	s_cbranch_vccz .LBB9_934
; %bb.933:
	global_store_dwordx2 v[2:3], v[24:25], off
	s_mov_b64 s[4:5], 0
.LBB9_934:
	s_andn2_b64 vcc, exec, s[4:5]
	s_cbranch_vccnz .LBB9_936
; %bb.935:
	v_cvt_f32_f64_e32 v5, v[24:25]
	global_store_dword v[2:3], v5, off
.LBB9_936:
	s_mov_b64 s[4:5], 0
.LBB9_937:
	s_andn2_b64 vcc, exec, s[4:5]
	s_cbranch_vccnz .LBB9_939
; %bb.938:
	v_cvt_f32_f64_e32 v5, v[24:25]
	v_cvt_f16_f32_e32 v5, v5
	global_store_short v[2:3], v5, off
.LBB9_939:
	s_mov_b64 s[4:5], 0
.LBB9_940:
	s_andn2_b64 vcc, exec, s[4:5]
	s_cbranch_vccnz .LBB9_956
; %bb.941:
	v_mov_b32_e32 v5, 2
	v_cmp_lt_i16_sdwa s[8:9], v32, v5 src0_sel:BYTE_0 src1_sel:DWORD
	s_mov_b64 s[4:5], -1
	s_and_b64 vcc, exec, s[8:9]
	s_cbranch_vccnz .LBB9_951
; %bb.942:
	v_mov_b32_e32 v5, 3
	v_cmp_lt_i16_sdwa s[8:9], v32, v5 src0_sel:BYTE_0 src1_sel:DWORD
	s_and_b64 vcc, exec, s[8:9]
	s_cbranch_vccnz .LBB9_948
; %bb.943:
	v_cmp_gt_i16_sdwa s[8:9], v32, v5 src0_sel:BYTE_0 src1_sel:DWORD
	s_and_b64 vcc, exec, s[8:9]
	s_cbranch_vccz .LBB9_945
; %bb.944:
	v_trunc_f64_e32 v[6:7], v[24:25]
	s_movk_i32 s4, 0xffe0
	v_ldexp_f64 v[8:9], v[6:7], s4
	v_floor_f64_e32 v[8:9], v[8:9]
	v_fmac_f64_e32 v[6:7], 0xc1f00000, v[8:9]
	v_cvt_i32_f64_e32 v11, v[8:9]
	v_cvt_u32_f64_e32 v10, v[6:7]
	global_store_dwordx2 v[2:3], v[10:11], off
	s_mov_b64 s[4:5], 0
.LBB9_945:
	s_andn2_b64 vcc, exec, s[4:5]
	s_cbranch_vccnz .LBB9_947
; %bb.946:
	v_cvt_i32_f64_e32 v5, v[24:25]
	global_store_dword v[2:3], v5, off
.LBB9_947:
	s_mov_b64 s[4:5], 0
.LBB9_948:
	s_andn2_b64 vcc, exec, s[4:5]
	s_cbranch_vccnz .LBB9_950
; %bb.949:
	v_cvt_i32_f64_e32 v5, v[24:25]
	global_store_short v[2:3], v5, off
.LBB9_950:
	s_mov_b64 s[4:5], 0
.LBB9_951:
	s_andn2_b64 vcc, exec, s[4:5]
	s_cbranch_vccnz .LBB9_956
; %bb.952:
	v_mov_b32_e32 v5, 0
	v_cmp_gt_i16_sdwa s[8:9], v32, v5 src0_sel:BYTE_0 src1_sel:DWORD
	s_mov_b64 s[4:5], -1
	s_and_b64 vcc, exec, s[8:9]
	s_cbranch_vccz .LBB9_954
; %bb.953:
	v_cvt_i32_f64_e32 v5, v[24:25]
	global_store_byte v[2:3], v5, off
	s_mov_b64 s[4:5], 0
.LBB9_954:
	s_andn2_b64 vcc, exec, s[4:5]
	s_cbranch_vccnz .LBB9_956
; %bb.955:
	v_trunc_f64_e32 v[6:7], v[24:25]
	s_movk_i32 s4, 0xffe0
	v_ldexp_f64 v[8:9], v[6:7], s4
	v_floor_f64_e32 v[8:9], v[8:9]
	v_fmac_f64_e32 v[6:7], 0xc1f00000, v[8:9]
	v_cvt_u32_f64_e32 v5, v[6:7]
	global_store_byte v[2:3], v5, off
.LBB9_956:
	s_branch .LBB9_763
.LBB9_957:
	s_mov_b64 s[4:5], 0
	s_mov_b64 s[8:9], 0
                                        ; implicit-def: $vgpr6
                                        ; implicit-def: $vgpr4_vgpr5
.LBB9_958:
	s_and_b64 s[34:35], s[8:9], exec
	s_andn2_b64 s[8:9], s[42:43], exec
	s_and_b64 s[6:7], s[6:7], exec
	s_and_b64 s[4:5], s[4:5], exec
	s_or_b64 s[42:43], s[8:9], s[6:7]
.LBB9_959:
	s_or_b64 exec, exec, s[40:41]
	s_and_saveexec_b64 s[6:7], s[42:43]
	s_cbranch_execz .LBB9_962
; %bb.960:
	; divergent unreachable
	s_or_b64 exec, exec, s[6:7]
	s_and_saveexec_b64 s[6:7], s[34:35]
	s_xor_b64 s[6:7], exec, s[6:7]
	s_cbranch_execnz .LBB9_963
.LBB9_961:
	s_or_b64 exec, exec, s[6:7]
	s_and_saveexec_b64 s[6:7], s[4:5]
	s_cbranch_execnz .LBB9_964
	s_branch .LBB9_1001
.LBB9_962:
	s_or_b64 exec, exec, s[6:7]
	s_and_saveexec_b64 s[6:7], s[34:35]
	s_xor_b64 s[6:7], exec, s[6:7]
	s_cbranch_execz .LBB9_961
.LBB9_963:
	v_cmp_neq_f64_e32 vcc, 0, v[0:1]
	v_cndmask_b32_e64 v2, 0, 1, vcc
	global_store_byte v[4:5], v2, off
	s_or_b64 exec, exec, s[6:7]
	s_and_saveexec_b64 s[6:7], s[4:5]
	s_cbranch_execz .LBB9_1001
.LBB9_964:
	v_cmp_gt_i16_e32 vcc, 5, v6
	s_mov_b64 s[4:5], -1
	s_cbranch_vccnz .LBB9_985
; %bb.965:
	v_cmp_gt_i16_e32 vcc, 8, v6
	s_cbranch_vccnz .LBB9_975
; %bb.966:
	v_cmp_gt_i16_e32 vcc, 9, v6
	s_cbranch_vccnz .LBB9_972
; %bb.967:
	v_cmp_lt_i16_e32 vcc, 9, v6
	s_cbranch_vccz .LBB9_969
; %bb.968:
	v_mov_b32_e32 v2, 0
	v_mov_b32_e32 v3, v2
	global_store_dwordx4 v[4:5], v[0:3], off
	s_mov_b64 s[4:5], 0
.LBB9_969:
	s_andn2_b64 vcc, exec, s[4:5]
	s_cbranch_vccnz .LBB9_971
; %bb.970:
	v_cvt_f32_f64_e32 v2, v[0:1]
	v_mov_b32_e32 v3, 0
	global_store_dwordx2 v[4:5], v[2:3], off
.LBB9_971:
	s_mov_b64 s[4:5], 0
.LBB9_972:
	s_andn2_b64 vcc, exec, s[4:5]
	s_cbranch_vccnz .LBB9_974
; %bb.973:
	v_cvt_f32_f64_e32 v2, v[0:1]
	v_cvt_f16_f32_e32 v2, v2
	global_store_dword v[4:5], v2, off
.LBB9_974:
	s_mov_b64 s[4:5], 0
.LBB9_975:
	s_andn2_b64 vcc, exec, s[4:5]
	s_cbranch_vccnz .LBB9_984
; %bb.976:
	v_cmp_gt_i16_e32 vcc, 6, v6
	s_mov_b64 s[4:5], -1
	s_cbranch_vccnz .LBB9_982
; %bb.977:
	v_cmp_lt_i16_e32 vcc, 6, v6
	s_cbranch_vccz .LBB9_979
; %bb.978:
	global_store_dwordx2 v[4:5], v[0:1], off
	s_mov_b64 s[4:5], 0
.LBB9_979:
	s_andn2_b64 vcc, exec, s[4:5]
	s_cbranch_vccnz .LBB9_981
; %bb.980:
	v_cvt_f32_f64_e32 v2, v[0:1]
	global_store_dword v[4:5], v2, off
.LBB9_981:
	s_mov_b64 s[4:5], 0
.LBB9_982:
	s_andn2_b64 vcc, exec, s[4:5]
	s_cbranch_vccnz .LBB9_984
; %bb.983:
	v_cvt_f32_f64_e32 v2, v[0:1]
	v_cvt_f16_f32_e32 v2, v2
	global_store_short v[4:5], v2, off
.LBB9_984:
	s_mov_b64 s[4:5], 0
.LBB9_985:
	s_andn2_b64 vcc, exec, s[4:5]
	s_cbranch_vccnz .LBB9_1001
; %bb.986:
	v_cmp_gt_i16_e32 vcc, 2, v6
	s_mov_b64 s[4:5], -1
	s_cbranch_vccnz .LBB9_996
; %bb.987:
	v_cmp_gt_i16_e32 vcc, 3, v6
	s_cbranch_vccnz .LBB9_993
; %bb.988:
	v_cmp_lt_i16_e32 vcc, 3, v6
	s_cbranch_vccz .LBB9_990
; %bb.989:
	v_trunc_f64_e32 v[2:3], v[0:1]
	s_movk_i32 s4, 0xffe0
	v_ldexp_f64 v[8:9], v[2:3], s4
	v_floor_f64_e32 v[8:9], v[8:9]
	v_fmac_f64_e32 v[2:3], 0xc1f00000, v[8:9]
	v_cvt_i32_f64_e32 v11, v[8:9]
	v_cvt_u32_f64_e32 v10, v[2:3]
	global_store_dwordx2 v[4:5], v[10:11], off
	s_mov_b64 s[4:5], 0
.LBB9_990:
	s_andn2_b64 vcc, exec, s[4:5]
	s_cbranch_vccnz .LBB9_992
; %bb.991:
	v_cvt_i32_f64_e32 v2, v[0:1]
	global_store_dword v[4:5], v2, off
.LBB9_992:
	s_mov_b64 s[4:5], 0
.LBB9_993:
	s_andn2_b64 vcc, exec, s[4:5]
	s_cbranch_vccnz .LBB9_995
; %bb.994:
	v_cvt_i32_f64_e32 v2, v[0:1]
	global_store_short v[4:5], v2, off
.LBB9_995:
	s_mov_b64 s[4:5], 0
.LBB9_996:
	s_andn2_b64 vcc, exec, s[4:5]
	s_cbranch_vccnz .LBB9_1001
; %bb.997:
	v_cmp_lt_i16_e32 vcc, 0, v6
	s_mov_b64 s[4:5], -1
	s_cbranch_vccz .LBB9_999
; %bb.998:
	v_cvt_i32_f64_e32 v2, v[0:1]
	global_store_byte v[4:5], v2, off
	s_mov_b64 s[4:5], 0
.LBB9_999:
	s_andn2_b64 vcc, exec, s[4:5]
	s_cbranch_vccnz .LBB9_1001
; %bb.1000:
	v_trunc_f64_e32 v[0:1], v[0:1]
	s_movk_i32 s4, 0xffe0
	v_ldexp_f64 v[2:3], v[0:1], s4
	v_floor_f64_e32 v[2:3], v[2:3]
	v_fmac_f64_e32 v[0:1], 0xc1f00000, v[2:3]
	v_cvt_u32_f64_e32 v0, v[0:1]
	global_store_byte v[4:5], v0, off
	s_endpgm
.LBB9_1001:
	s_endpgm
.LBB9_1002:
	s_or_saveexec_b64 s[14:15], s[14:15]
                                        ; implicit-def: $sgpr17
	s_xor_b64 exec, exec, s[14:15]
	s_cbranch_execz .LBB9_869
.LBB9_1003:
	s_mov_b32 s17, 0x46000000
	v_add_f32_e64 v6, |v5|, s17
	v_and_b32_e32 v6, 0xff, v6
	v_cmp_ne_u32_e32 vcc, 0, v6
	s_andn2_b64 s[12:13], s[12:13], exec
	s_and_b64 s[18:19], vcc, exec
	s_mov_b32 s17, 0
	s_or_b64 s[12:13], s[12:13], s[18:19]
	s_or_b64 exec, exec, s[14:15]
	v_mov_b32_e32 v7, s17
	s_and_saveexec_b64 s[14:15], s[12:13]
	s_cbranch_execnz .LBB9_870
	s_branch .LBB9_871
.LBB9_1004:
	s_trap 2
	s_or_b64 s[6:7], s[6:7], exec
	s_cbranch_execz .LBB9_917
	s_branch .LBB9_918
.LBB9_1005:
	s_or_saveexec_b64 s[10:11], s[10:11]
                                        ; implicit-def: $sgpr12
	s_xor_b64 exec, exec, s[10:11]
	s_cbranch_execz .LBB9_295
.LBB9_1006:
	s_mov_b32 s12, 0x46000000
	v_add_f32_e64 v3, |v2|, s12
	v_and_b32_e32 v3, 0xff, v3
	v_cmp_ne_u32_e32 vcc, 0, v3
	s_andn2_b64 s[8:9], s[8:9], exec
	s_and_b64 s[14:15], vcc, exec
	s_mov_b32 s12, 0
	s_or_b64 s[8:9], s[8:9], s[14:15]
	s_or_b64 exec, exec, s[10:11]
	v_mov_b32_e32 v6, s12
	s_and_saveexec_b64 s[10:11], s[8:9]
	s_cbranch_execnz .LBB9_296
	s_branch .LBB9_297
.LBB9_1007:
	s_or_saveexec_b64 s[14:15], s[14:15]
                                        ; implicit-def: $sgpr16
	s_xor_b64 exec, exec, s[14:15]
	s_cbranch_execz .LBB9_792
.LBB9_1008:
	s_mov_b32 s16, 0x46000000
	v_add_f32_e64 v3, |v2|, s16
	v_and_b32_e32 v3, 0xff, v3
	v_cmp_ne_u32_e32 vcc, 0, v3
	s_andn2_b64 s[12:13], s[12:13], exec
	s_and_b64 s[18:19], vcc, exec
	s_mov_b32 s16, 0
	s_or_b64 s[12:13], s[12:13], s[18:19]
	s_or_b64 exec, exec, s[14:15]
	v_mov_b32_e32 v7, s16
	s_and_saveexec_b64 s[14:15], s[12:13]
	s_cbranch_execnz .LBB9_793
	s_branch .LBB9_794
.LBB9_1009:
	s_or_saveexec_b64 s[12:13], s[12:13]
                                        ; implicit-def: $sgpr14
	s_xor_b64 exec, exec, s[12:13]
	s_cbranch_execz .LBB9_882
.LBB9_1010:
	s_mov_b32 s14, 0x42800000
	v_add_f32_e64 v6, |v5|, s14
	v_and_b32_e32 v6, 0xff, v6
	v_cmp_ne_u32_e32 vcc, 0, v6
	s_andn2_b64 s[10:11], s[10:11], exec
	s_and_b64 s[18:19], vcc, exec
	s_mov_b32 s14, 0
	s_or_b64 s[10:11], s[10:11], s[18:19]
	s_or_b64 exec, exec, s[12:13]
	v_mov_b32_e32 v7, s14
	s_and_saveexec_b64 s[12:13], s[10:11]
	s_cbranch_execnz .LBB9_883
	s_branch .LBB9_884
.LBB9_1011:
	s_mov_b64 s[8:9], 0
	s_or_b64 s[6:7], s[6:7], exec
	s_trap 2
	s_branch .LBB9_838
.LBB9_1012:
	s_or_saveexec_b64 s[10:11], s[10:11]
                                        ; implicit-def: $sgpr12
	s_xor_b64 exec, exec, s[10:11]
	s_cbranch_execz .LBB9_308
.LBB9_1013:
	s_mov_b32 s12, 0x42800000
	v_add_f32_e64 v3, |v2|, s12
	v_and_b32_e32 v3, 0xff, v3
	v_cmp_ne_u32_e32 vcc, 0, v3
	s_andn2_b64 s[8:9], s[8:9], exec
	s_and_b64 s[14:15], vcc, exec
	s_mov_b32 s12, 0
	s_or_b64 s[8:9], s[8:9], s[14:15]
	s_or_b64 exec, exec, s[10:11]
	v_mov_b32_e32 v6, s12
	s_and_saveexec_b64 s[10:11], s[8:9]
	s_cbranch_execnz .LBB9_309
	s_branch .LBB9_310
.LBB9_1014:
	s_or_saveexec_b64 s[10:11], s[10:11]
                                        ; implicit-def: $sgpr12
	s_xor_b64 exec, exec, s[10:11]
	s_cbranch_execz .LBB9_417
.LBB9_1015:
	s_mov_b32 s12, 0x46000000
	v_add_f32_e64 v3, |v2|, s12
	v_and_b32_e32 v3, 0xff, v3
	v_cmp_ne_u32_e32 vcc, 0, v3
	s_andn2_b64 s[8:9], s[8:9], exec
	s_and_b64 s[14:15], vcc, exec
	s_mov_b32 s12, 0
	s_or_b64 s[8:9], s[8:9], s[14:15]
	s_or_b64 exec, exec, s[10:11]
	v_mov_b32_e32 v7, s12
	s_and_saveexec_b64 s[10:11], s[8:9]
	s_cbranch_execnz .LBB9_418
	s_branch .LBB9_419
.LBB9_1016:
	s_or_saveexec_b64 s[12:13], s[12:13]
                                        ; implicit-def: $sgpr14
	s_xor_b64 exec, exec, s[12:13]
	s_cbranch_execz .LBB9_804
.LBB9_1017:
	s_mov_b32 s14, 0x42800000
	v_add_f32_e64 v3, |v2|, s14
	v_and_b32_e32 v3, 0xff, v3
	v_cmp_ne_u32_e32 vcc, 0, v3
	s_andn2_b64 s[10:11], s[10:11], exec
	s_and_b64 s[16:17], vcc, exec
	s_mov_b32 s14, 0
	s_or_b64 s[10:11], s[10:11], s[16:17]
	s_or_b64 exec, exec, s[12:13]
	v_mov_b32_e32 v7, s14
	s_and_saveexec_b64 s[12:13], s[10:11]
	s_cbranch_execnz .LBB9_805
	s_branch .LBB9_806
.LBB9_1018:
	s_or_saveexec_b64 s[12:13], s[12:13]
                                        ; implicit-def: $sgpr14
	s_xor_b64 exec, exec, s[12:13]
	s_cbranch_execz .LBB9_429
.LBB9_1019:
	s_mov_b32 s14, 0x42800000
	v_add_f32_e64 v3, |v2|, s14
	v_and_b32_e32 v3, 0xff, v3
	v_cmp_ne_u32_e32 vcc, 0, v3
	s_andn2_b64 s[10:11], s[10:11], exec
	s_and_b64 s[16:17], vcc, exec
	s_mov_b32 s14, 0
	s_or_b64 s[10:11], s[10:11], s[16:17]
	s_or_b64 exec, exec, s[12:13]
	v_mov_b32_e32 v7, s14
	s_and_saveexec_b64 s[12:13], s[10:11]
	s_cbranch_execnz .LBB9_430
	s_branch .LBB9_431
	.section	.rodata,"a",@progbits
	.p2align	6, 0x0
	.amdhsa_kernel _ZN2at6native32elementwise_kernel_manual_unrollILi128ELi4EZNS0_15gpu_kernel_implIZZZNS0_12_GLOBAL__N_137scaled_modified_bessel_k0_kernel_cudaERNS_18TensorIteratorBaseEENKUlvE_clEvENKUlvE_clEvEUldE_EEvS5_RKT_EUlibE_EEviT1_
		.amdhsa_group_segment_fixed_size 0
		.amdhsa_private_segment_fixed_size 0
		.amdhsa_kernarg_size 40
		.amdhsa_user_sgpr_count 8
		.amdhsa_user_sgpr_private_segment_buffer 1
		.amdhsa_user_sgpr_dispatch_ptr 0
		.amdhsa_user_sgpr_queue_ptr 0
		.amdhsa_user_sgpr_kernarg_segment_ptr 1
		.amdhsa_user_sgpr_dispatch_id 0
		.amdhsa_user_sgpr_flat_scratch_init 1
		.amdhsa_user_sgpr_kernarg_preload_length 0
		.amdhsa_user_sgpr_kernarg_preload_offset 0
		.amdhsa_user_sgpr_private_segment_size 0
		.amdhsa_uses_dynamic_stack 0
		.amdhsa_system_sgpr_private_segment_wavefront_offset 0
		.amdhsa_system_sgpr_workgroup_id_x 1
		.amdhsa_system_sgpr_workgroup_id_y 0
		.amdhsa_system_sgpr_workgroup_id_z 0
		.amdhsa_system_sgpr_workgroup_info 0
		.amdhsa_system_vgpr_workitem_id 0
		.amdhsa_next_free_vgpr 33
		.amdhsa_next_free_sgpr 56
		.amdhsa_accum_offset 36
		.amdhsa_reserve_vcc 1
		.amdhsa_reserve_flat_scratch 1
		.amdhsa_float_round_mode_32 0
		.amdhsa_float_round_mode_16_64 0
		.amdhsa_float_denorm_mode_32 3
		.amdhsa_float_denorm_mode_16_64 3
		.amdhsa_dx10_clamp 1
		.amdhsa_ieee_mode 1
		.amdhsa_fp16_overflow 0
		.amdhsa_tg_split 0
		.amdhsa_exception_fp_ieee_invalid_op 0
		.amdhsa_exception_fp_denorm_src 0
		.amdhsa_exception_fp_ieee_div_zero 0
		.amdhsa_exception_fp_ieee_overflow 0
		.amdhsa_exception_fp_ieee_underflow 0
		.amdhsa_exception_fp_ieee_inexact 0
		.amdhsa_exception_int_div_zero 0
	.end_amdhsa_kernel
	.section	.text._ZN2at6native32elementwise_kernel_manual_unrollILi128ELi4EZNS0_15gpu_kernel_implIZZZNS0_12_GLOBAL__N_137scaled_modified_bessel_k0_kernel_cudaERNS_18TensorIteratorBaseEENKUlvE_clEvENKUlvE_clEvEUldE_EEvS5_RKT_EUlibE_EEviT1_,"axG",@progbits,_ZN2at6native32elementwise_kernel_manual_unrollILi128ELi4EZNS0_15gpu_kernel_implIZZZNS0_12_GLOBAL__N_137scaled_modified_bessel_k0_kernel_cudaERNS_18TensorIteratorBaseEENKUlvE_clEvENKUlvE_clEvEUldE_EEvS5_RKT_EUlibE_EEviT1_,comdat
.Lfunc_end9:
	.size	_ZN2at6native32elementwise_kernel_manual_unrollILi128ELi4EZNS0_15gpu_kernel_implIZZZNS0_12_GLOBAL__N_137scaled_modified_bessel_k0_kernel_cudaERNS_18TensorIteratorBaseEENKUlvE_clEvENKUlvE_clEvEUldE_EEvS5_RKT_EUlibE_EEviT1_, .Lfunc_end9-_ZN2at6native32elementwise_kernel_manual_unrollILi128ELi4EZNS0_15gpu_kernel_implIZZZNS0_12_GLOBAL__N_137scaled_modified_bessel_k0_kernel_cudaERNS_18TensorIteratorBaseEENKUlvE_clEvENKUlvE_clEvEUldE_EEvS5_RKT_EUlibE_EEviT1_
                                        ; -- End function
	.section	.AMDGPU.csdata,"",@progbits
; Kernel info:
; codeLenInByte = 18632
; NumSgprs: 62
; NumVgprs: 33
; NumAgprs: 0
; TotalNumVgprs: 33
; ScratchSize: 0
; MemoryBound: 0
; FloatMode: 240
; IeeeMode: 1
; LDSByteSize: 0 bytes/workgroup (compile time only)
; SGPRBlocks: 7
; VGPRBlocks: 4
; NumSGPRsForWavesPerEU: 62
; NumVGPRsForWavesPerEU: 33
; AccumOffset: 36
; Occupancy: 8
; WaveLimiterHint : 0
; COMPUTE_PGM_RSRC2:SCRATCH_EN: 0
; COMPUTE_PGM_RSRC2:USER_SGPR: 8
; COMPUTE_PGM_RSRC2:TRAP_HANDLER: 0
; COMPUTE_PGM_RSRC2:TGID_X_EN: 1
; COMPUTE_PGM_RSRC2:TGID_Y_EN: 0
; COMPUTE_PGM_RSRC2:TGID_Z_EN: 0
; COMPUTE_PGM_RSRC2:TIDIG_COMP_CNT: 0
; COMPUTE_PGM_RSRC3_GFX90A:ACCUM_OFFSET: 8
; COMPUTE_PGM_RSRC3_GFX90A:TG_SPLIT: 0
	.text
	.p2align	2                               ; -- Begin function _ZN2at6native6invokeIZZZNS0_12_GLOBAL__N_137scaled_modified_bessel_k0_kernel_cudaERNS_18TensorIteratorBaseEENKUlvE_clEvENKUlvE_clEvEUldE_j15function_traitsIS7_EEENT1_11result_typeERKT_PrKPcPKT0_PKN3c1010ScalarTypeEi
	.type	_ZN2at6native6invokeIZZZNS0_12_GLOBAL__N_137scaled_modified_bessel_k0_kernel_cudaERNS_18TensorIteratorBaseEENKUlvE_clEvENKUlvE_clEvEUldE_j15function_traitsIS7_EEENT1_11result_typeERKT_PrKPcPKT0_PKN3c1010ScalarTypeEi,@function
_ZN2at6native6invokeIZZZNS0_12_GLOBAL__N_137scaled_modified_bessel_k0_kernel_cudaERNS_18TensorIteratorBaseEENKUlvE_clEvENKUlvE_clEvEUldE_j15function_traitsIS7_EEENT1_11result_typeERKT_PrKPcPKT0_PKN3c1010ScalarTypeEi: ; @_ZN2at6native6invokeIZZZNS0_12_GLOBAL__N_137scaled_modified_bessel_k0_kernel_cudaERNS_18TensorIteratorBaseEENKUlvE_clEvENKUlvE_clEvEUldE_j15function_traitsIS7_EEENT1_11result_typeERKT_PrKPcPKT0_PKN3c1010ScalarTypeEi
; %bb.0:
	s_waitcnt vmcnt(0) expcnt(0) lgkmcnt(0)
	v_add_co_u32_e32 v0, vcc, v0, v2
	v_mov_b32_e32 v2, 10
	v_addc_co_u32_e32 v1, vcc, 0, v1, vcc
	v_cmp_gt_i16_sdwa s[4:5], v3, v2 src0_sel:BYTE_0 src1_sel:DWORD
	s_mov_b64 s[6:7], 0
                                        ; implicit-def: $vgpr4_vgpr5
	s_and_saveexec_b64 s[8:9], s[4:5]
	s_xor_b64 s[4:5], exec, s[8:9]
	s_cbranch_execnz .LBB10_4
; %bb.1:
	s_andn2_saveexec_b64 s[4:5], s[4:5]
	s_cbranch_execnz .LBB10_10
.LBB10_2:
	s_or_b64 exec, exec, s[4:5]
                                        ; implicit-def: $vgpr0_vgpr1
	s_and_saveexec_b64 s[4:5], s[6:7]
	s_cbranch_execnz .LBB10_51
.LBB10_3:
	s_or_b64 exec, exec, s[4:5]
	s_waitcnt vmcnt(0) lgkmcnt(0)
	s_setpc_b64 s[30:31]
.LBB10_4:
	v_mov_b32_e32 v2, 25
	v_cmp_gt_i16_sdwa s[10:11], v3, v2 src0_sel:BYTE_0 src1_sel:DWORD
	s_mov_b64 s[12:13], 0
	s_mov_b64 s[8:9], 0
                                        ; implicit-def: $vgpr4_vgpr5
	s_and_saveexec_b64 s[14:15], s[10:11]
	s_xor_b64 s[10:11], exec, s[14:15]
	s_cbranch_execnz .LBB10_64
; %bb.5:
	s_andn2_saveexec_b64 s[10:11], s[10:11]
	s_cbranch_execnz .LBB10_95
.LBB10_6:
	s_or_b64 exec, exec, s[10:11]
	s_and_saveexec_b64 s[10:11], s[12:13]
	s_cbranch_execnz .LBB10_118
.LBB10_7:
	s_or_b64 exec, exec, s[10:11]
	s_and_saveexec_b64 s[10:11], s[6:7]
	s_xor_b64 s[6:7], exec, s[10:11]
	s_cbranch_execz .LBB10_9
.LBB10_8:
	flat_load_ubyte v0, v[0:1]
	v_mov_b32_e32 v1, 0x3ff00000
	v_mov_b32_e32 v4, 0
	s_or_b64 s[8:9], s[8:9], exec
	s_waitcnt vmcnt(0) lgkmcnt(0)
	v_cmp_ne_u16_e32 vcc, 0, v0
	v_cndmask_b32_e32 v5, 0, v1, vcc
.LBB10_9:
	s_or_b64 exec, exec, s[6:7]
	s_and_b64 s[6:7], s[8:9], exec
                                        ; implicit-def: $vgpr3
                                        ; implicit-def: $vgpr0_vgpr1
	s_andn2_saveexec_b64 s[4:5], s[4:5]
	s_cbranch_execz .LBB10_2
.LBB10_10:
	v_mov_b32_e32 v2, 4
	v_cmp_gt_i16_sdwa s[8:9], v3, v2 src0_sel:BYTE_0 src1_sel:DWORD
                                        ; implicit-def: $vgpr4_vgpr5
	s_and_saveexec_b64 s[10:11], s[8:9]
	s_xor_b64 s[8:9], exec, s[10:11]
	s_cbranch_execz .LBB10_32
; %bb.11:
	v_mov_b32_e32 v2, 7
	v_cmp_gt_i16_sdwa s[10:11], v3, v2 src0_sel:BYTE_0 src1_sel:DWORD
                                        ; implicit-def: $vgpr4_vgpr5
	s_and_saveexec_b64 s[12:13], s[10:11]
	s_xor_b64 s[10:11], exec, s[12:13]
	s_cbranch_execz .LBB10_21
; %bb.12:
	;; [unrolled: 7-line block ×4, first 2 shown]
	flat_load_dwordx2 v[4:5], v[0:1]
                                        ; implicit-def: $vgpr0_vgpr1
.LBB10_15:
	s_andn2_saveexec_b64 s[14:15], s[14:15]
	s_cbranch_execz .LBB10_17
; %bb.16:
	flat_load_dword v0, v[0:1]
	s_waitcnt vmcnt(0) lgkmcnt(0)
	v_cvt_f64_f32_e32 v[4:5], v0
.LBB10_17:
	s_or_b64 exec, exec, s[14:15]
                                        ; implicit-def: $vgpr0_vgpr1
.LBB10_18:
	s_andn2_saveexec_b64 s[12:13], s[12:13]
	s_cbranch_execz .LBB10_20
; %bb.19:
	flat_load_dword v0, v[0:1]
	s_waitcnt vmcnt(0) lgkmcnt(0)
	v_cvt_f32_f16_e32 v0, v0
	v_cvt_f64_f32_e32 v[4:5], v0
.LBB10_20:
	s_or_b64 exec, exec, s[12:13]
                                        ; implicit-def: $vgpr0_vgpr1
                                        ; implicit-def: $vgpr3
.LBB10_21:
	s_andn2_saveexec_b64 s[10:11], s[10:11]
	s_cbranch_execz .LBB10_31
; %bb.22:
	v_mov_b32_e32 v2, 5
	v_cmp_gt_i16_sdwa s[12:13], v3, v2 src0_sel:BYTE_0 src1_sel:DWORD
                                        ; implicit-def: $vgpr4_vgpr5
	s_and_saveexec_b64 s[14:15], s[12:13]
	s_xor_b64 s[12:13], exec, s[14:15]
	s_cbranch_execz .LBB10_28
; %bb.23:
	v_mov_b32_e32 v2, 6
	v_cmp_gt_i16_sdwa s[14:15], v3, v2 src0_sel:BYTE_0 src1_sel:DWORD
                                        ; implicit-def: $vgpr4_vgpr5
	s_and_saveexec_b64 s[16:17], s[14:15]
	s_xor_b64 s[14:15], exec, s[16:17]
	s_cbranch_execz .LBB10_25
; %bb.24:
	s_waitcnt vmcnt(0) lgkmcnt(0)
	flat_load_dwordx2 v[4:5], v[0:1]
                                        ; implicit-def: $vgpr0_vgpr1
.LBB10_25:
	s_andn2_saveexec_b64 s[14:15], s[14:15]
	s_cbranch_execz .LBB10_27
; %bb.26:
	flat_load_dword v0, v[0:1]
	s_waitcnt vmcnt(0) lgkmcnt(0)
	v_cvt_f64_f32_e32 v[4:5], v0
.LBB10_27:
	s_or_b64 exec, exec, s[14:15]
                                        ; implicit-def: $vgpr0_vgpr1
.LBB10_28:
	s_andn2_saveexec_b64 s[12:13], s[12:13]
	s_cbranch_execz .LBB10_30
; %bb.29:
	flat_load_ushort v0, v[0:1]
	s_waitcnt vmcnt(0) lgkmcnt(0)
	v_cvt_f32_f16_e32 v0, v0
	v_cvt_f64_f32_e32 v[4:5], v0
.LBB10_30:
	s_or_b64 exec, exec, s[12:13]
.LBB10_31:
	s_or_b64 exec, exec, s[10:11]
                                        ; implicit-def: $vgpr3
                                        ; implicit-def: $vgpr0_vgpr1
.LBB10_32:
	s_andn2_saveexec_b64 s[8:9], s[8:9]
	s_cbranch_execz .LBB10_50
; %bb.33:
	v_mov_b32_e32 v2, 1
	v_cmp_gt_i16_sdwa s[10:11], v3, v2 src0_sel:BYTE_0 src1_sel:DWORD
                                        ; implicit-def: $vgpr4_vgpr5
	s_and_saveexec_b64 s[12:13], s[10:11]
	s_xor_b64 s[10:11], exec, s[12:13]
	s_cbranch_execz .LBB10_43
; %bb.34:
	v_mov_b32_e32 v2, 2
	v_cmp_gt_i16_sdwa s[12:13], v3, v2 src0_sel:BYTE_0 src1_sel:DWORD
                                        ; implicit-def: $vgpr4_vgpr5
	s_and_saveexec_b64 s[14:15], s[12:13]
	s_xor_b64 s[12:13], exec, s[14:15]
	;; [unrolled: 7-line block ×3, first 2 shown]
	s_cbranch_execz .LBB10_37
; %bb.36:
	flat_load_dwordx2 v[0:1], v[0:1]
	s_waitcnt vmcnt(0) lgkmcnt(0)
	v_cvt_f64_i32_e32 v[2:3], v1
	v_ldexp_f64 v[2:3], v[2:3], 32
	v_cvt_f64_u32_e32 v[0:1], v0
	v_add_f64 v[4:5], v[2:3], v[0:1]
                                        ; implicit-def: $vgpr0_vgpr1
.LBB10_37:
	s_andn2_saveexec_b64 s[14:15], s[14:15]
	s_cbranch_execz .LBB10_39
; %bb.38:
	flat_load_dword v0, v[0:1]
	s_waitcnt vmcnt(0) lgkmcnt(0)
	v_cvt_f64_i32_e32 v[4:5], v0
.LBB10_39:
	s_or_b64 exec, exec, s[14:15]
                                        ; implicit-def: $vgpr0_vgpr1
.LBB10_40:
	s_andn2_saveexec_b64 s[12:13], s[12:13]
	s_cbranch_execz .LBB10_42
; %bb.41:
	flat_load_sshort v0, v[0:1]
	s_waitcnt vmcnt(0) lgkmcnt(0)
	v_cvt_f64_i32_e32 v[4:5], v0
.LBB10_42:
	s_or_b64 exec, exec, s[12:13]
                                        ; implicit-def: $vgpr0_vgpr1
                                        ; implicit-def: $vgpr3
.LBB10_43:
	s_andn2_saveexec_b64 s[10:11], s[10:11]
	s_cbranch_execz .LBB10_49
; %bb.44:
	v_mov_b32_e32 v2, 0
	v_cmp_gt_i16_sdwa s[12:13], v3, v2 src0_sel:BYTE_0 src1_sel:DWORD
                                        ; implicit-def: $vgpr4_vgpr5
	s_and_saveexec_b64 s[14:15], s[12:13]
	s_xor_b64 s[12:13], exec, s[14:15]
	s_cbranch_execz .LBB10_46
; %bb.45:
	flat_load_sbyte v0, v[0:1]
	s_waitcnt vmcnt(0) lgkmcnt(0)
	v_cvt_f64_i32_e32 v[4:5], v0
                                        ; implicit-def: $vgpr0_vgpr1
.LBB10_46:
	s_andn2_saveexec_b64 s[12:13], s[12:13]
	s_cbranch_execz .LBB10_48
; %bb.47:
	flat_load_ubyte v0, v[0:1]
	s_waitcnt vmcnt(0) lgkmcnt(0)
	v_cvt_f64_u32_e32 v[4:5], v0
.LBB10_48:
	s_or_b64 exec, exec, s[12:13]
.LBB10_49:
	s_or_b64 exec, exec, s[10:11]
.LBB10_50:
	s_or_b64 exec, exec, s[8:9]
	s_or_b64 s[6:7], s[6:7], exec
	s_or_b64 exec, exec, s[4:5]
                                        ; implicit-def: $vgpr0_vgpr1
	s_and_saveexec_b64 s[4:5], s[6:7]
	s_cbranch_execz .LBB10_3
.LBB10_51:
	v_mov_b32_e32 v0, 0
	s_waitcnt vmcnt(0) lgkmcnt(0)
	v_cmp_neq_f64_e32 vcc, 0, v[4:5]
	v_mov_b32_e32 v1, 0x7ff00000
	s_and_saveexec_b64 s[6:7], vcc
	s_cbranch_execz .LBB10_63
; %bb.52:
	v_mov_b32_e32 v0, 0
	v_cmp_ngt_f64_e32 vcc, 0, v[4:5]
	v_mov_b32_e32 v1, 0x7ff80000
	s_and_saveexec_b64 s[8:9], vcc
	s_cbranch_execz .LBB10_62
; %bb.53:
	v_cmp_ge_f64_e32 vcc, 2.0, v[4:5]
                                        ; implicit-def: $vgpr0_vgpr1
	s_and_saveexec_b64 s[10:11], vcc
	s_xor_b64 s[10:11], exec, s[10:11]
	s_cbranch_execz .LBB10_59
; %bb.54:
	s_mov_b32 s12, 0
	s_mov_b32 s13, 0x40200000
	v_mul_f64 v[0:1], v[4:5], 0.5
	v_cmp_ge_f64_e32 vcc, s[12:13], v[4:5]
                                        ; implicit-def: $vgpr6_vgpr7
                                        ; implicit-def: $vgpr2_vgpr3
	s_and_saveexec_b64 s[12:13], vcc
	s_xor_b64 s[12:13], exec, s[12:13]
	s_cbranch_execz .LBB10_56
; %bb.55:
	s_mov_b32 s14, 0x2134d0ef
	v_add_f64 v[2:3], v[0:1], -2.0
	v_mov_b32_e32 v6, 0x977da589
	v_mov_b32_e32 v7, 0x3c833362
	s_mov_b32 s15, 0xbc545cb7
	v_fmac_f64_e32 v[6:7], s[14:15], v[2:3]
	v_mov_b32_e32 v8, 0x2134d0ef
	v_mov_b32_e32 v9, 0x3c545cb7
	s_mov_b32 s14, 0x721ebbb4
	v_fmac_f64_e32 v[8:9], v[2:3], v[6:7]
	s_mov_b32 s15, 0xbcb184eb
	v_add_f64 v[8:9], v[8:9], s[14:15]
	s_mov_b32 s14, 0x93f65eba
	v_fma_f64 v[6:7], v[2:3], v[8:9], -v[6:7]
	s_mov_b32 s15, 0x3cdee6d8
	v_add_f64 v[6:7], v[6:7], s[14:15]
	s_mov_b32 s14, 0xc297fbeb
	v_fma_f64 v[8:9], v[2:3], v[6:7], -v[8:9]
	;; [unrolled: 4-line block ×27, first 2 shown]
	s_mov_b32 s15, 0x3fe5a84e
	v_add_f64 v[8:9], v[2:3], s[14:15]
	s_mov_b32 s14, 0x652b82fe
	s_mov_b32 s15, 0x3ff71547
	v_mul_f64 v[2:3], v[4:5], s[14:15]
	s_mov_b32 s14, 0xfefa39ef
	v_rndne_f64_e32 v[2:3], v[2:3]
	s_mov_b32 s15, 0xbfe62e42
	v_fma_f64 v[10:11], s[14:15], v[2:3], v[4:5]
	s_mov_b32 s14, 0x3b39803f
	s_mov_b32 s15, 0xbc7abc9e
	v_fmac_f64_e32 v[10:11], s[14:15], v[2:3]
	s_mov_b32 s14, 0x6a5dcb37
	v_mov_b32_e32 v12, 0xfca7ab0c
	v_mov_b32_e32 v13, 0x3e928af3
	s_mov_b32 s15, 0x3e5ade15
	v_fmac_f64_e32 v[12:13], s[14:15], v[10:11]
	v_mov_b32_e32 v14, 0x623fde64
	v_mov_b32_e32 v15, 0x3ec71dee
	v_fmac_f64_e32 v[14:15], v[10:11], v[12:13]
	v_mov_b32_e32 v12, 0x7c89e6b0
	v_mov_b32_e32 v13, 0x3efa0199
	v_fmac_f64_e32 v[12:13], v[10:11], v[14:15]
	v_mov_b32_e32 v14, 0x14761f6e
	v_mov_b32_e32 v15, 0x3f2a01a0
	v_fmac_f64_e32 v[14:15], v[10:11], v[12:13]
	v_mov_b32_e32 v12, 0x1852b7b0
	v_mov_b32_e32 v13, 0x3f56c16c
	v_fmac_f64_e32 v[12:13], v[10:11], v[14:15]
	v_mov_b32_e32 v14, 0x11122322
	v_mov_b32_e32 v15, 0x3f811111
	v_fmac_f64_e32 v[14:15], v[10:11], v[12:13]
	v_mov_b32_e32 v12, 0x555502a1
	v_mov_b32_e32 v13, 0x3fa55555
	v_fmac_f64_e32 v[12:13], v[10:11], v[14:15]
	v_mov_b32_e32 v14, 0x55555511
	v_mov_b32_e32 v15, 0x3fc55555
	v_fmac_f64_e32 v[14:15], v[10:11], v[12:13]
	v_mov_b32_e32 v12, 11
	v_mov_b32_e32 v13, 0x3fe00000
	v_fmac_f64_e32 v[12:13], v[10:11], v[14:15]
	v_fma_f64 v[12:13], v[10:11], v[12:13], 1.0
	s_mov_b32 s14, 0
	v_fma_f64 v[10:11], v[10:11], v[12:13], 1.0
	v_cvt_i32_f64_e32 v2, v[2:3]
	s_mov_b32 s15, 0x40900000
	v_ldexp_f64 v[2:3], v[10:11], v2
	v_mov_b32_e32 v10, 0x7ff00000
	v_cmp_nlt_f64_e32 vcc, s[14:15], v[4:5]
	v_add_f64 v[6:7], v[8:9], -v[6:7]
	v_cndmask_b32_e32 v3, v10, v3, vcc
	v_cndmask_b32_e32 v2, 0, v2, vcc
	v_mul_f64 v[6:7], v[6:7], 0.5
	v_mul_f64 v[6:7], v[2:3], v[6:7]
.LBB10_56:
	s_andn2_saveexec_b64 s[12:13], s[12:13]
	s_cbranch_execz .LBB10_58
; %bb.57:
	s_mov_b32 s14, 0
	s_mov_b32 s15, 0x40400000
	v_div_scale_f64 v[2:3], s[16:17], v[4:5], v[4:5], s[14:15]
	v_rcp_f64_e32 v[6:7], v[2:3]
	v_mov_b32_e32 v12, 0xfca7ab0c
	v_mov_b32_e32 v13, 0x3e928af3
	;; [unrolled: 1-line block ×3, first 2 shown]
	v_fma_f64 v[8:9], -v[2:3], v[6:7], 1.0
	v_fmac_f64_e32 v[6:7], v[6:7], v[8:9]
	v_fma_f64 v[8:9], -v[2:3], v[6:7], 1.0
	v_fmac_f64_e32 v[6:7], v[6:7], v[8:9]
	v_div_scale_f64 v[8:9], vcc, s[14:15], v[4:5], s[14:15]
	v_mul_f64 v[10:11], v[8:9], v[6:7]
	v_fma_f64 v[2:3], -v[2:3], v[10:11], v[8:9]
	v_mov_b32_e32 v8, 0x54ca8b19
	s_nop 0
	v_div_fmas_f64 v[2:3], v[2:3], v[6:7], v[10:11]
	v_div_fixup_f64 v[2:3], v[2:3], v[4:5], s[14:15]
	s_mov_b32 s14, 0x54ca8b19
	v_add_f64 v[2:3], v[2:3], -2.0
	v_mov_b32_e32 v6, 0x66119130
	v_mov_b32_e32 v7, 0xbc5646da
	s_mov_b32 s15, 0xbc60adb7
	v_fmac_f64_e32 v[6:7], s[14:15], v[2:3]
	v_mov_b32_e32 v9, 0x3c60adb7
	s_mov_b32 s14, 0x12d98421
	v_fmac_f64_e32 v[8:9], v[2:3], v[6:7]
	s_mov_b32 s15, 0x3c89be18
	v_add_f64 v[8:9], v[8:9], s[14:15]
	s_mov_b32 s14, 0x76041cd
	v_fma_f64 v[6:7], v[2:3], v[8:9], -v[6:7]
	s_mov_b32 s15, 0x3c83f3dd
	v_add_f64 v[6:7], v[6:7], s[14:15]
	s_mov_b32 s14, 0xabd21fe4
	v_fma_f64 v[8:9], v[2:3], v[6:7], -v[8:9]
	;; [unrolled: 4-line block ×22, first 2 shown]
	s_mov_b32 s15, 0x3fe9be62
	v_add_f64 v[8:9], v[2:3], s[14:15]
	s_mov_b32 s14, 0x652b82fe
	s_mov_b32 s15, 0x3ff71547
	v_mul_f64 v[2:3], v[4:5], s[14:15]
	s_mov_b32 s14, 0xfefa39ef
	v_rndne_f64_e32 v[2:3], v[2:3]
	s_mov_b32 s15, 0xbfe62e42
	v_fma_f64 v[10:11], s[14:15], v[2:3], v[4:5]
	s_mov_b32 s14, 0x3b39803f
	s_mov_b32 s15, 0xbc7abc9e
	v_fmac_f64_e32 v[10:11], s[14:15], v[2:3]
	s_mov_b32 s14, 0x6a5dcb37
	s_mov_b32 s15, 0x3e5ade15
	v_fmac_f64_e32 v[12:13], s[14:15], v[10:11]
	v_mov_b32_e32 v15, 0x3ec71dee
	v_fmac_f64_e32 v[14:15], v[10:11], v[12:13]
	v_mov_b32_e32 v12, 0x7c89e6b0
	v_mov_b32_e32 v13, 0x3efa0199
	v_fmac_f64_e32 v[12:13], v[10:11], v[14:15]
	v_mov_b32_e32 v14, 0x14761f6e
	;; [unrolled: 3-line block ×7, first 2 shown]
	v_mov_b32_e32 v13, 0x3fe00000
	v_fmac_f64_e32 v[12:13], v[10:11], v[14:15]
	s_mov_b32 s14, 0
	v_fma_f64 v[12:13], v[10:11], v[12:13], 1.0
	s_mov_b32 s15, 0x40900000
	v_fma_f64 v[10:11], v[10:11], v[12:13], 1.0
	v_cvt_i32_f64_e32 v2, v[2:3]
	v_cmp_nlt_f64_e32 vcc, s[14:15], v[4:5]
	s_mov_b32 s14, 0
	v_ldexp_f64 v[2:3], v[10:11], v2
	v_mov_b32_e32 v10, 0x7ff00000
	s_brev_b32 s15, 8
	v_cndmask_b32_e32 v3, v10, v3, vcc
	v_cndmask_b32_e32 v2, 0, v2, vcc
	v_cmp_gt_f64_e32 vcc, s[14:15], v[4:5]
	v_cndmask_b32_e64 v10, 0, 1, vcc
	v_lshlrev_b32_e32 v10, 8, v10
	v_ldexp_f64 v[10:11], v[4:5], v10
	v_rsq_f64_e32 v[12:13], v[10:11]
	v_add_f64 v[6:7], v[8:9], -v[6:7]
	v_mul_f64 v[6:7], v[6:7], 0.5
	v_mul_f64 v[6:7], v[2:3], v[6:7]
	v_mul_f64 v[8:9], v[10:11], v[12:13]
	v_mul_f64 v[12:13], v[12:13], 0.5
	v_fma_f64 v[14:15], -v[12:13], v[8:9], 0.5
	v_fmac_f64_e32 v[8:9], v[8:9], v[14:15]
	v_fma_f64 v[16:17], -v[8:9], v[8:9], v[10:11]
	v_fmac_f64_e32 v[12:13], v[12:13], v[14:15]
	v_fmac_f64_e32 v[8:9], v[16:17], v[12:13]
	v_fma_f64 v[14:15], -v[8:9], v[8:9], v[10:11]
	v_fmac_f64_e32 v[8:9], v[14:15], v[12:13]
	v_mov_b32_e32 v12, 0xffffff80
	v_cndmask_b32_e32 v12, 0, v12, vcc
	v_ldexp_f64 v[8:9], v[8:9], v12
	v_mov_b32_e32 v12, 0x260
	v_cmp_class_f64_e32 vcc, v[10:11], v12
	v_cndmask_b32_e32 v9, v9, v11, vcc
	v_cndmask_b32_e32 v8, v8, v10, vcc
	v_div_scale_f64 v[10:11], s[14:15], v[8:9], v[8:9], v[6:7]
	v_rcp_f64_e32 v[12:13], v[10:11]
	v_fma_f64 v[14:15], -v[10:11], v[12:13], 1.0
	v_fmac_f64_e32 v[12:13], v[12:13], v[14:15]
	v_fma_f64 v[14:15], -v[10:11], v[12:13], 1.0
	v_fmac_f64_e32 v[12:13], v[12:13], v[14:15]
	v_div_scale_f64 v[14:15], vcc, v[6:7], v[8:9], v[6:7]
	v_mul_f64 v[16:17], v[14:15], v[12:13]
	v_fma_f64 v[10:11], -v[10:11], v[16:17], v[14:15]
	s_nop 1
	v_div_fmas_f64 v[10:11], v[10:11], v[12:13], v[16:17]
	v_div_fixup_f64 v[6:7], v[10:11], v[8:9], v[6:7]
.LBB10_58:
	s_or_b64 exec, exec, s[12:13]
	s_mov_b32 s12, 0xe6a7fd77
	v_fma_f64 v[4:5], v[4:5], v[4:5], -2.0
	v_mov_b32_e32 v8, 0xc384c2aa
	v_mov_b32_e32 v9, 0x3d27fb0a
	s_mov_b32 s13, 0x3ca3cee1
	v_fmac_f64_e32 v[8:9], s[12:13], v[4:5]
	v_mov_b32_e32 v10, 0xe6a7fd77
	v_mov_b32_e32 v11, 0xbca3cee1
	s_mov_b32 s12, 0x47512144
	v_fmac_f64_e32 v[10:11], v[4:5], v[8:9]
	s_mov_b32 s13, 0x3da6c25c
	v_add_f64 v[10:11], v[10:11], s[12:13]
	s_mov_b32 s12, 0x67e58a13
	v_fma_f64 v[8:9], v[4:5], v[10:11], -v[8:9]
	s_mov_b32 s13, 0x3e205c13
	v_add_f64 v[8:9], v[8:9], s[12:13]
	s_mov_b32 s12, 0xe7f95efc
	v_fma_f64 v[10:11], v[4:5], v[8:9], -v[10:11]
	;; [unrolled: 4-line block ×7, first 2 shown]
	s_mov_b32 s13, 0xbfe12166
	v_add_f64 v[4:5], v[4:5], s[12:13]
	s_mov_b32 s12, 0x55555555
	v_add_f64 v[4:5], v[4:5], -v[8:9]
	v_frexp_mant_f64_e32 v[8:9], v[0:1]
	s_mov_b32 s13, 0x3fe55555
	v_mov_b32_e32 v10, 0x3ff00000
	v_cmp_gt_f64_e32 vcc, s[12:13], v[8:9]
	v_cndmask_b32_e64 v11, v10, 2.0, vcc
	v_mov_b32_e32 v10, 0
	v_mul_f64 v[8:9], v[8:9], v[10:11]
	v_frexp_exp_i32_f64_e32 v12, v[0:1]
	v_add_f64 v[10:11], v[8:9], 1.0
	v_subbrev_co_u32_e32 v22, vcc, 0, v12, vcc
	v_rcp_f64_e32 v[12:13], v[10:11]
	v_add_f64 v[16:17], v[10:11], -1.0
	v_add_f64 v[14:15], v[8:9], -1.0
	v_add_f64 v[8:9], v[8:9], -v[16:17]
	v_fma_f64 v[16:17], -v[10:11], v[12:13], 1.0
	v_fmac_f64_e32 v[12:13], v[16:17], v[12:13]
	v_fma_f64 v[16:17], -v[10:11], v[12:13], 1.0
	v_fmac_f64_e32 v[12:13], v[16:17], v[12:13]
	v_mul_f64 v[16:17], v[14:15], v[12:13]
	v_mul_f64 v[18:19], v[10:11], v[16:17]
	v_fma_f64 v[10:11], v[16:17], v[10:11], -v[18:19]
	v_fmac_f64_e32 v[10:11], v[16:17], v[8:9]
	v_add_f64 v[8:9], v[18:19], v[10:11]
	v_add_f64 v[20:21], v[14:15], -v[8:9]
	v_add_f64 v[18:19], v[8:9], -v[18:19]
	v_add_f64 v[14:15], v[14:15], -v[20:21]
	v_add_f64 v[8:9], v[14:15], -v[8:9]
	v_add_f64 v[10:11], v[18:19], -v[10:11]
	v_add_f64 v[8:9], v[10:11], v[8:9]
	v_add_f64 v[8:9], v[20:21], v[8:9]
	v_mul_f64 v[8:9], v[12:13], v[8:9]
	v_add_f64 v[10:11], v[16:17], v[8:9]
	v_add_f64 v[12:13], v[10:11], -v[16:17]
	s_mov_b32 s12, 0xbf559e2b
	v_add_f64 v[8:9], v[8:9], -v[12:13]
	v_mul_f64 v[12:13], v[10:11], v[10:11]
	v_mov_b32_e32 v14, 0x6b47b09a
	v_mov_b32_e32 v15, 0x3fc38538
	s_mov_b32 s13, 0x3fc3ab76
	v_fmac_f64_e32 v[14:15], s[12:13], v[12:13]
	v_mov_b32_e32 v16, 0xd7f4df2e
	v_mov_b32_e32 v17, 0x3fc7474d
	v_fmac_f64_e32 v[16:17], v[12:13], v[14:15]
	v_mov_b32_e32 v14, 0x16291751
	v_mov_b32_e32 v15, 0x3fcc71c0
	;; [unrolled: 3-line block ×5, first 2 shown]
	v_fmac_f64_e32 v[16:17], v[12:13], v[14:15]
	v_ldexp_f64 v[14:15], v[10:11], 1
	v_mul_f64 v[10:11], v[10:11], v[12:13]
	v_mul_f64 v[10:11], v[10:11], v[16:17]
	v_add_f64 v[12:13], v[14:15], v[10:11]
	v_add_f64 v[14:15], v[12:13], -v[14:15]
	v_ldexp_f64 v[8:9], v[8:9], 1
	v_add_f64 v[10:11], v[10:11], -v[14:15]
	v_add_f64 v[8:9], v[8:9], v[10:11]
	v_add_f64 v[10:11], v[12:13], v[8:9]
	v_add_f64 v[12:13], v[10:11], -v[12:13]
	s_mov_b32 s12, 0xfefa39ef
	v_add_f64 v[8:9], v[8:9], -v[12:13]
	v_cvt_f64_i32_e32 v[12:13], v22
	s_mov_b32 s13, 0x3fe62e42
	v_mul_f64 v[14:15], v[12:13], s[12:13]
	v_fma_f64 v[16:17], v[12:13], s[12:13], -v[14:15]
	s_mov_b32 s12, 0x3b39803f
	s_mov_b32 s13, 0x3c7abc9e
	v_fmac_f64_e32 v[16:17], s[12:13], v[12:13]
	v_add_f64 v[12:13], v[14:15], v[16:17]
	v_add_f64 v[14:15], v[12:13], -v[14:15]
	v_add_f64 v[14:15], v[16:17], -v[14:15]
	v_add_f64 v[16:17], v[12:13], v[10:11]
	v_add_f64 v[18:19], v[16:17], -v[12:13]
	v_add_f64 v[20:21], v[16:17], -v[18:19]
	v_add_f64 v[12:13], v[12:13], -v[20:21]
	v_add_f64 v[10:11], v[10:11], -v[18:19]
	v_add_f64 v[10:11], v[10:11], v[12:13]
	v_add_f64 v[12:13], v[14:15], v[8:9]
	v_add_f64 v[18:19], v[12:13], -v[14:15]
	v_add_f64 v[20:21], v[12:13], -v[18:19]
	v_add_f64 v[10:11], v[12:13], v[10:11]
	v_add_f64 v[14:15], v[14:15], -v[20:21]
	v_add_f64 v[8:9], v[8:9], -v[18:19]
	v_add_f64 v[12:13], v[16:17], v[10:11]
	v_add_f64 v[8:9], v[8:9], v[14:15]
	v_add_f64 v[14:15], v[12:13], -v[16:17]
	v_add_f64 v[10:11], v[10:11], -v[14:15]
	s_mov_b32 s12, 0
	v_add_f64 v[8:9], v[8:9], v[10:11]
	s_mov_b32 s13, 0x7ff00000
	v_add_f64 v[8:9], v[12:13], v[8:9]
	v_cmp_eq_f64_e32 vcc, s[12:13], v[0:1]
	v_cndmask_b32_e32 v8, v8, v0, vcc
	v_cndmask_b32_e32 v9, v9, v1, vcc
	v_mov_b32_e32 v10, 0xfff00000
	v_cmp_neq_f64_e32 vcc, 0, v[0:1]
	v_cndmask_b32_e32 v1, v10, v9, vcc
	v_cndmask_b32_e32 v0, 0, v8, vcc
	v_mul_f64 v[0:1], v[0:1], v[6:7]
	v_fma_f64 v[0:1], v[4:5], 0.5, -v[0:1]
	v_mul_f64 v[0:1], v[2:3], v[0:1]
                                        ; implicit-def: $vgpr4_vgpr5
.LBB10_59:
	s_andn2_saveexec_b64 s[10:11], s[10:11]
	s_cbranch_execz .LBB10_61
; %bb.60:
	s_mov_b32 s12, 0
	s_mov_b32 s13, 0x40200000
	v_div_scale_f64 v[0:1], s[14:15], v[4:5], v[4:5], s[12:13]
	v_rcp_f64_e32 v[2:3], v[0:1]
	s_mov_b32 s14, 0
	s_brev_b32 s15, 8
	v_fma_f64 v[6:7], -v[0:1], v[2:3], 1.0
	v_fmac_f64_e32 v[2:3], v[2:3], v[6:7]
	v_fma_f64 v[6:7], -v[0:1], v[2:3], 1.0
	v_fmac_f64_e32 v[2:3], v[2:3], v[6:7]
	v_div_scale_f64 v[6:7], vcc, s[12:13], v[4:5], s[12:13]
	v_mul_f64 v[8:9], v[6:7], v[2:3]
	v_fma_f64 v[0:1], -v[0:1], v[8:9], v[6:7]
	v_mov_b32_e32 v6, 0xcf8c9ee1
	s_nop 0
	v_div_fmas_f64 v[0:1], v[0:1], v[2:3], v[8:9]
	v_div_fixup_f64 v[0:1], v[0:1], v[4:5], s[12:13]
	s_mov_b32 s12, 0xcf8c9ee1
	v_add_f64 v[0:1], v[0:1], -2.0
	v_mov_b32_e32 v2, 0x93812603
	v_mov_b32_e32 v3, 0xbc72fecc
	s_mov_b32 s13, 0x3c5871a5
	v_fmac_f64_e32 v[2:3], s[12:13], v[0:1]
	v_mov_b32_e32 v7, 0xbc5871a5
	s_mov_b32 s12, 0x41a8cdf4
	v_fmac_f64_e32 v[6:7], v[0:1], v[2:3]
	s_mov_b32 s13, 0x3c8e092e
	v_add_f64 v[6:7], v[6:7], s[12:13]
	s_mov_b32 s12, 0x74d77641
	v_fma_f64 v[2:3], v[0:1], v[6:7], -v[2:3]
	s_mov_b32 s13, 0xbca82f94
	v_add_f64 v[2:3], v[2:3], s[12:13]
	s_mov_b32 s12, 0x6b94785b
	v_fma_f64 v[6:7], v[0:1], v[2:3], -v[6:7]
	;; [unrolled: 4-line block ×21, first 2 shown]
	s_mov_b32 s13, 0xbfa019f7
	v_add_f64 v[2:3], v[2:3], s[12:13]
	v_cmp_gt_f64_e32 vcc, s[14:15], v[4:5]
	v_fma_f64 v[0:1], v[0:1], v[2:3], -v[6:7]
	v_cndmask_b32_e64 v2, 0, 1, vcc
	v_lshlrev_b32_e32 v2, 8, v2
	v_ldexp_f64 v[2:3], v[4:5], v2
	v_rsq_f64_e32 v[4:5], v[2:3]
	s_mov_b32 s12, 0x9f4e6907
	s_mov_b32 s13, 0x400385bd
	v_add_f64 v[0:1], v[0:1], s[12:13]
	v_add_f64 v[0:1], v[0:1], -v[6:7]
	v_mul_f64 v[6:7], v[2:3], v[4:5]
	v_mul_f64 v[4:5], v[4:5], 0.5
	v_fma_f64 v[8:9], -v[4:5], v[6:7], 0.5
	v_fmac_f64_e32 v[6:7], v[6:7], v[8:9]
	v_fma_f64 v[10:11], -v[6:7], v[6:7], v[2:3]
	v_fmac_f64_e32 v[4:5], v[4:5], v[8:9]
	v_fmac_f64_e32 v[6:7], v[10:11], v[4:5]
	v_fma_f64 v[8:9], -v[6:7], v[6:7], v[2:3]
	v_fmac_f64_e32 v[6:7], v[8:9], v[4:5]
	v_mov_b32_e32 v4, 0xffffff80
	v_cndmask_b32_e32 v4, 0, v4, vcc
	v_ldexp_f64 v[4:5], v[6:7], v4
	v_mov_b32_e32 v6, 0x260
	v_cmp_class_f64_e32 vcc, v[2:3], v6
	v_mul_f64 v[0:1], v[0:1], 0.5
	v_cndmask_b32_e32 v3, v5, v3, vcc
	v_cndmask_b32_e32 v2, v4, v2, vcc
	v_div_scale_f64 v[4:5], s[12:13], v[2:3], v[2:3], v[0:1]
	v_rcp_f64_e32 v[6:7], v[4:5]
	v_fma_f64 v[8:9], -v[4:5], v[6:7], 1.0
	v_fmac_f64_e32 v[6:7], v[6:7], v[8:9]
	v_fma_f64 v[8:9], -v[4:5], v[6:7], 1.0
	v_fmac_f64_e32 v[6:7], v[6:7], v[8:9]
	v_div_scale_f64 v[8:9], vcc, v[0:1], v[2:3], v[0:1]
	v_mul_f64 v[10:11], v[8:9], v[6:7]
	v_fma_f64 v[4:5], -v[4:5], v[10:11], v[8:9]
	s_nop 1
	v_div_fmas_f64 v[4:5], v[4:5], v[6:7], v[10:11]
	v_div_fixup_f64 v[0:1], v[4:5], v[2:3], v[0:1]
.LBB10_61:
	s_or_b64 exec, exec, s[10:11]
.LBB10_62:
	s_or_b64 exec, exec, s[8:9]
.LBB10_63:
	s_or_b64 exec, exec, s[6:7]
	s_or_b64 exec, exec, s[4:5]
	s_setpc_b64 s[30:31]
.LBB10_64:
	v_mov_b32_e32 v2, 28
	v_cmp_gt_i16_sdwa s[8:9], v3, v2 src0_sel:BYTE_0 src1_sel:DWORD
	s_mov_b64 s[14:15], 0
                                        ; implicit-def: $vgpr4_vgpr5
	s_and_saveexec_b64 s[16:17], s[8:9]
	s_xor_b64 s[8:9], exec, s[16:17]
	s_cbranch_execz .LBB10_80
; %bb.65:
	v_mov_b32_e32 v2, 43
	v_cmp_gt_i16_sdwa s[12:13], v3, v2 src0_sel:BYTE_0 src1_sel:DWORD
	s_mov_b64 s[16:17], 0
	s_mov_b64 s[18:19], 0
                                        ; implicit-def: $vgpr4_vgpr5
	s_and_saveexec_b64 s[14:15], s[12:13]
	s_xor_b64 s[12:13], exec, s[14:15]
	s_cbranch_execz .LBB10_75
; %bb.66:
	v_mov_b32_e32 v2, 45
	v_cmp_gt_i16_sdwa s[18:19], v3, v2 src0_sel:BYTE_0 src1_sel:DWORD
	s_mov_b64 s[14:15], 0
                                        ; implicit-def: $vgpr4_vgpr5
	s_and_saveexec_b64 s[20:21], s[18:19]
	s_xor_b64 s[18:19], exec, s[20:21]
	s_cbranch_execz .LBB10_70
; %bb.67:
	v_mov_b32_e32 v2, 46
	v_cmp_eq_u16_sdwa s[22:23], v3, v2 src0_sel:BYTE_0 src1_sel:DWORD
	s_mov_b64 s[20:21], -1
                                        ; implicit-def: $vgpr4_vgpr5
	s_and_saveexec_b64 s[16:17], s[22:23]
	s_cbranch_execz .LBB10_69
; %bb.68:
	flat_load_dword v2, v[0:1]
	s_mov_b64 s[14:15], exec
	s_xor_b64 s[20:21], exec, -1
	s_waitcnt vmcnt(0) lgkmcnt(0)
	v_lshlrev_b32_e32 v2, 16, v2
	v_cvt_f64_f32_e32 v[4:5], v2
.LBB10_69:
	s_or_b64 exec, exec, s[16:17]
	s_and_b64 s[16:17], s[14:15], exec
	s_and_b64 s[14:15], s[20:21], exec
                                        ; implicit-def: $vgpr3
.LBB10_70:
	s_andn2_saveexec_b64 s[18:19], s[18:19]
	s_cbranch_execz .LBB10_74
; %bb.71:
	v_mov_b32_e32 v2, 44
	v_cmp_eq_u16_sdwa s[26:27], v3, v2 src0_sel:BYTE_0 src1_sel:DWORD
	s_mov_b64 s[24:25], -1
	s_mov_b64 s[22:23], s[16:17]
                                        ; implicit-def: $vgpr4_vgpr5
	s_and_saveexec_b64 s[20:21], s[26:27]
	s_cbranch_execz .LBB10_73
; %bb.72:
	flat_load_ubyte v4, v[0:1]
	s_movk_i32 s24, 0xff
	v_bfrev_b32_e32 v5, 4
	v_mov_b32_e32 v6, 0x7ff80000
	v_bfrev_b32_e32 v7, 28
	s_or_b64 s[22:23], s[16:17], exec
	s_waitcnt vmcnt(0) lgkmcnt(0)
	v_lshlrev_b32_e32 v2, 23, v4
	v_cvt_f64_f32_e32 v[2:3], v2
	v_cmp_ne_u32_e32 vcc, s24, v4
	v_cndmask_b32_e32 v2, v5, v2, vcc
	v_cndmask_b32_e32 v3, v6, v3, vcc
	v_cmp_ne_u32_e32 vcc, 0, v4
	v_cndmask_b32_e32 v5, v7, v3, vcc
	v_cndmask_b32_e32 v4, 0, v2, vcc
	s_xor_b64 s[24:25], exec, -1
.LBB10_73:
	s_or_b64 exec, exec, s[20:21]
	s_andn2_b64 s[16:17], s[16:17], exec
	s_and_b64 s[20:21], s[22:23], exec
	s_or_b64 s[16:17], s[16:17], s[20:21]
	s_andn2_b64 s[14:15], s[14:15], exec
	s_and_b64 s[20:21], s[24:25], exec
	s_or_b64 s[14:15], s[14:15], s[20:21]
.LBB10_74:
	s_or_b64 exec, exec, s[18:19]
	s_and_b64 s[18:19], s[16:17], exec
	s_and_b64 s[16:17], s[14:15], exec
                                        ; implicit-def: $vgpr3
.LBB10_75:
	s_andn2_saveexec_b64 s[12:13], s[12:13]
	s_cbranch_execz .LBB10_79
; %bb.76:
	v_mov_b32_e32 v2, 29
	v_cmp_eq_u16_sdwa s[24:25], v3, v2 src0_sel:BYTE_0 src1_sel:DWORD
	s_mov_b64 s[14:15], -1
	s_mov_b64 s[20:21], s[18:19]
                                        ; implicit-def: $vgpr4_vgpr5
	s_and_saveexec_b64 s[22:23], s[24:25]
	s_cbranch_execz .LBB10_78
; %bb.77:
	flat_load_dwordx2 v[2:3], v[0:1]
	s_or_b64 s[20:21], s[18:19], exec
	s_xor_b64 s[14:15], exec, -1
	s_waitcnt vmcnt(0) lgkmcnt(0)
	v_cvt_f64_u32_e32 v[4:5], v3
	v_cvt_f64_u32_e32 v[2:3], v2
	v_ldexp_f64 v[4:5], v[4:5], 32
	v_add_f64 v[4:5], v[4:5], v[2:3]
.LBB10_78:
	s_or_b64 exec, exec, s[22:23]
	s_andn2_b64 s[18:19], s[18:19], exec
	s_and_b64 s[20:21], s[20:21], exec
	s_andn2_b64 s[16:17], s[16:17], exec
	s_and_b64 s[14:15], s[14:15], exec
	s_or_b64 s[18:19], s[18:19], s[20:21]
	s_or_b64 s[16:17], s[16:17], s[14:15]
.LBB10_79:
	s_or_b64 exec, exec, s[12:13]
	s_and_b64 s[14:15], s[18:19], exec
	s_and_b64 s[12:13], s[16:17], exec
                                        ; implicit-def: $vgpr3
.LBB10_80:
	s_andn2_saveexec_b64 s[8:9], s[8:9]
	s_cbranch_execz .LBB10_94
; %bb.81:
	v_mov_b32_e32 v2, 26
	v_cmp_gt_i16_sdwa s[16:17], v3, v2 src0_sel:BYTE_0 src1_sel:DWORD
                                        ; implicit-def: $vgpr4_vgpr5
	s_and_saveexec_b64 s[18:19], s[16:17]
	s_xor_b64 s[16:17], exec, s[18:19]
	s_cbranch_execz .LBB10_87
; %bb.82:
	v_mov_b32_e32 v2, 27
	v_cmp_gt_i16_sdwa s[18:19], v3, v2 src0_sel:BYTE_0 src1_sel:DWORD
                                        ; implicit-def: $vgpr4_vgpr5
	s_and_saveexec_b64 s[20:21], s[18:19]
	s_xor_b64 s[18:19], exec, s[20:21]
	s_cbranch_execz .LBB10_84
; %bb.83:
	flat_load_dword v2, v[0:1]
	s_waitcnt vmcnt(0) lgkmcnt(0)
	v_cvt_f64_u32_e32 v[4:5], v2
.LBB10_84:
	s_andn2_saveexec_b64 s[18:19], s[18:19]
	s_cbranch_execz .LBB10_86
; %bb.85:
	flat_load_ushort v2, v[0:1]
	s_waitcnt vmcnt(0) lgkmcnt(0)
	v_cvt_f64_u32_e32 v[4:5], v2
.LBB10_86:
	s_or_b64 exec, exec, s[18:19]
.LBB10_87:
	s_andn2_saveexec_b64 s[16:17], s[16:17]
	s_cbranch_execz .LBB10_93
; %bb.88:
	flat_load_ubyte v2, v[0:1]
	s_movk_i32 s18, 0x7f
                                        ; implicit-def: $sgpr20_sgpr21
	s_waitcnt vmcnt(0) lgkmcnt(0)
	v_cmp_lt_i16_e32 vcc, s18, v2
	s_mov_b64 s[18:19], 0
	s_and_saveexec_b64 s[22:23], vcc
	s_xor_b64 s[22:23], exec, s[22:23]
	s_cbranch_execnz .LBB10_119
; %bb.89:
	s_or_saveexec_b64 s[22:23], s[22:23]
	v_pk_mov_b32 v[4:5], s[20:21], s[20:21] op_sel:[0,1]
	s_xor_b64 exec, exec, s[22:23]
	s_cbranch_execnz .LBB10_122
.LBB10_90:
	s_or_b64 exec, exec, s[22:23]
	s_and_saveexec_b64 s[20:21], s[18:19]
	s_cbranch_execz .LBB10_92
.LBB10_91:
	v_lshlrev_b32_e32 v3, 24, v2
	v_and_b32_e32 v2, 0xffff, v2
	v_and_b32_e32 v4, 7, v2
	v_ffbh_u32_e32 v6, v4
	v_min_u32_e32 v6, 32, v6
	v_subrev_u32_e32 v7, 28, v6
	v_bfe_u32 v5, v2, 3, 4
	v_lshlrev_b32_e32 v2, v7, v2
	v_sub_u32_e32 v6, 29, v6
	v_and_b32_e32 v2, 7, v2
	v_cmp_eq_u32_e32 vcc, 0, v5
	v_cndmask_b32_e32 v5, v5, v6, vcc
	v_cndmask_b32_e32 v2, v4, v2, vcc
	v_mov_b32_e32 v4, 0x3b800000
	v_lshlrev_b32_e32 v2, 20, v2
	v_and_b32_e32 v3, 0x80000000, v3
	v_lshl_add_u32 v4, v5, 23, v4
	v_or3_b32 v2, v3, v4, v2
	v_cvt_f64_f32_e32 v[4:5], v2
.LBB10_92:
	s_or_b64 exec, exec, s[20:21]
.LBB10_93:
	s_or_b64 exec, exec, s[16:17]
	s_or_b64 s[14:15], s[14:15], exec
.LBB10_94:
	s_or_b64 exec, exec, s[8:9]
	s_and_b64 s[8:9], s[14:15], exec
	s_and_b64 s[12:13], s[12:13], exec
                                        ; implicit-def: $vgpr3
	s_andn2_saveexec_b64 s[10:11], s[10:11]
	s_cbranch_execz .LBB10_6
.LBB10_95:
	v_mov_b32_e32 v2, 22
	v_cmp_gt_i16_sdwa s[6:7], v3, v2 src0_sel:BYTE_0 src1_sel:DWORD
	s_mov_b64 s[14:15], s[8:9]
                                        ; implicit-def: $vgpr4_vgpr5
	s_and_saveexec_b64 s[16:17], s[6:7]
	s_xor_b64 s[6:7], exec, s[16:17]
	s_cbranch_execz .LBB10_109
; %bb.96:
	v_mov_b32_e32 v2, 23
	v_cmp_gt_i16_sdwa s[14:15], v3, v2 src0_sel:BYTE_0 src1_sel:DWORD
                                        ; implicit-def: $vgpr4_vgpr5
	s_and_saveexec_b64 s[16:17], s[14:15]
	s_xor_b64 s[14:15], exec, s[16:17]
	s_cbranch_execz .LBB10_106
; %bb.97:
	v_mov_b32_e32 v2, 24
	v_cmp_gt_i16_sdwa s[16:17], v3, v2 src0_sel:BYTE_0 src1_sel:DWORD
                                        ; implicit-def: $vgpr4_vgpr5
	s_and_saveexec_b64 s[18:19], s[16:17]
	s_xor_b64 s[16:17], exec, s[18:19]
	s_cbranch_execz .LBB10_103
; %bb.98:
	flat_load_ubyte v2, v[0:1]
	s_movk_i32 s18, 0x7f
                                        ; implicit-def: $sgpr20_sgpr21
	s_waitcnt vmcnt(0) lgkmcnt(0)
	v_cmp_lt_i16_e32 vcc, s18, v2
	s_mov_b64 s[18:19], 0
	s_and_saveexec_b64 s[22:23], vcc
	s_xor_b64 s[22:23], exec, s[22:23]
	s_cbranch_execnz .LBB10_123
; %bb.99:
	s_or_saveexec_b64 s[22:23], s[22:23]
	v_pk_mov_b32 v[4:5], s[20:21], s[20:21] op_sel:[0,1]
	s_xor_b64 exec, exec, s[22:23]
	s_cbranch_execnz .LBB10_126
.LBB10_100:
	s_or_b64 exec, exec, s[22:23]
	s_and_saveexec_b64 s[20:21], s[18:19]
	s_cbranch_execz .LBB10_102
.LBB10_101:
	v_lshlrev_b32_e32 v3, 24, v2
	v_and_b32_e32 v2, 0xffff, v2
	v_and_b32_e32 v4, 3, v2
	v_ffbh_u32_e32 v6, v4
	v_min_u32_e32 v6, 32, v6
	v_subrev_u32_e32 v7, 29, v6
	v_bfe_u32 v5, v2, 2, 5
	v_lshlrev_b32_e32 v2, v7, v2
	v_sub_u32_e32 v6, 30, v6
	v_and_b32_e32 v2, 3, v2
	v_cmp_eq_u32_e32 vcc, 0, v5
	v_cndmask_b32_e32 v5, v5, v6, vcc
	v_cndmask_b32_e32 v2, v4, v2, vcc
	v_mov_b32_e32 v4, 0x37800000
	v_lshlrev_b32_e32 v2, 21, v2
	v_and_b32_e32 v3, 0x80000000, v3
	v_lshl_add_u32 v4, v5, 23, v4
	v_or3_b32 v2, v3, v4, v2
	v_cvt_f64_f32_e32 v[4:5], v2
.LBB10_102:
	s_or_b64 exec, exec, s[20:21]
.LBB10_103:
	s_andn2_saveexec_b64 s[16:17], s[16:17]
	s_cbranch_execz .LBB10_105
; %bb.104:
	flat_load_ubyte v2, v[0:1]
	s_mov_b32 s18, 0x7f800000
	s_waitcnt vmcnt(0) lgkmcnt(0)
	v_lshlrev_b32_e32 v2, 24, v2
	v_and_b32_e32 v3, 0x7f000000, v2
	v_ffbh_u32_e32 v4, v3
	v_min_u32_e32 v4, 32, v4
	v_sub_u32_e64 v4, v4, 4 clamp
	v_lshlrev_b32_e32 v6, v4, v3
	v_lshlrev_b32_e32 v4, 23, v4
	v_lshrrev_b32_e32 v6, 4, v6
	v_add_u32_e32 v5, 0x1000000, v3
	v_sub_u32_e32 v4, v6, v4
	v_ashrrev_i32_e32 v5, 8, v5
	v_add_u32_e32 v4, 0x3c000000, v4
	v_and_or_b32 v4, v5, s18, v4
	v_cmp_ne_u32_e32 vcc, 0, v3
	v_cndmask_b32_e32 v3, 0, v4, vcc
	s_brev_b32 s18, 1
	v_and_or_b32 v2, v2, s18, v3
	v_cvt_f64_f32_e32 v[4:5], v2
.LBB10_105:
	s_or_b64 exec, exec, s[16:17]
.LBB10_106:
	s_andn2_saveexec_b64 s[14:15], s[14:15]
	s_cbranch_execz .LBB10_108
; %bb.107:
	flat_load_ubyte v2, v[0:1]
	s_movk_i32 s16, 0x7f00
	s_brev_b32 s17, 16
	s_waitcnt vmcnt(0) lgkmcnt(0)
	v_lshlrev_b16_e32 v3, 8, v2
	v_lshlrev_b32_e32 v2, 25, v2
	v_lshrrev_b32_e32 v4, 4, v2
	v_and_or_b32 v5, v3, s16, 0.5
	v_or_b32_e32 v4, 0x70000000, v4
	v_add_f32_e32 v5, -0.5, v5
	v_mul_f32_e32 v4, 0x7800000, v4
	v_cmp_gt_u32_e32 vcc, s17, v2
	v_bfe_i32 v3, v3, 0, 16
	v_cndmask_b32_e32 v2, v4, v5, vcc
	s_brev_b32 s16, 1
	v_and_or_b32 v2, v3, s16, v2
	v_cvt_f64_f32_e32 v[4:5], v2
.LBB10_108:
	s_or_b64 exec, exec, s[14:15]
	s_or_b64 s[14:15], s[8:9], exec
                                        ; implicit-def: $vgpr3
.LBB10_109:
	s_or_saveexec_b64 s[6:7], s[6:7]
	s_mov_b64 s[18:19], 0
	s_mov_b64 s[16:17], s[12:13]
	s_xor_b64 exec, exec, s[6:7]
	s_cbranch_execz .LBB10_117
; %bb.110:
	v_mov_b32_e32 v2, 14
	v_cmp_gt_i16_sdwa s[20:21], v3, v2 src0_sel:BYTE_0 src1_sel:DWORD
	s_mov_b64 s[16:17], s[12:13]
	s_mov_b64 s[18:19], s[14:15]
                                        ; implicit-def: $vgpr4_vgpr5
	s_and_saveexec_b64 s[22:23], s[20:21]
	s_xor_b64 s[20:21], exec, s[22:23]
	s_cbranch_execz .LBB10_114
; %bb.111:
	v_mov_b32_e32 v2, 15
	v_cmp_eq_u16_sdwa s[24:25], v3, v2 src0_sel:BYTE_0 src1_sel:DWORD
	s_mov_b64 s[16:17], -1
	s_mov_b64 s[18:19], s[14:15]
                                        ; implicit-def: $vgpr4_vgpr5
	s_and_saveexec_b64 s[22:23], s[24:25]
	s_cbranch_execz .LBB10_113
; %bb.112:
	flat_load_ushort v2, v[0:1]
	s_or_b64 s[18:19], s[14:15], exec
	s_xor_b64 s[16:17], exec, -1
	s_waitcnt vmcnt(0) lgkmcnt(0)
	v_lshlrev_b32_e32 v2, 16, v2
	v_cvt_f64_f32_e32 v[4:5], v2
.LBB10_113:
	s_or_b64 exec, exec, s[22:23]
	s_andn2_b64 s[22:23], s[14:15], exec
	s_and_b64 s[18:19], s[18:19], exec
	s_or_b64 s[18:19], s[22:23], s[18:19]
	s_andn2_b64 s[22:23], s[12:13], exec
	s_and_b64 s[16:17], s[16:17], exec
	s_or_b64 s[16:17], s[22:23], s[16:17]
                                        ; implicit-def: $vgpr3
.LBB10_114:
	s_or_saveexec_b64 s[20:21], s[20:21]
	s_mov_b64 s[22:23], 0
	s_xor_b64 exec, exec, s[20:21]
; %bb.115:
	v_mov_b32_e32 v2, 11
	v_cmp_ne_u16_sdwa s[24:25], v3, v2 src0_sel:BYTE_0 src1_sel:DWORD
	s_andn2_b64 s[16:17], s[16:17], exec
	s_and_b64 s[24:25], s[24:25], exec
	s_mov_b64 s[22:23], exec
	s_or_b64 s[16:17], s[16:17], s[24:25]
                                        ; implicit-def: $vgpr4_vgpr5
; %bb.116:
	s_or_b64 exec, exec, s[20:21]
	s_andn2_b64 s[14:15], s[14:15], exec
	s_and_b64 s[18:19], s[18:19], exec
	s_andn2_b64 s[20:21], s[12:13], exec
	s_and_b64 s[16:17], s[16:17], exec
	s_or_b64 s[14:15], s[14:15], s[18:19]
	s_and_b64 s[18:19], s[22:23], exec
	s_or_b64 s[16:17], s[20:21], s[16:17]
.LBB10_117:
	s_or_b64 exec, exec, s[6:7]
	s_andn2_b64 s[6:7], s[8:9], exec
	s_and_b64 s[8:9], s[14:15], exec
	s_andn2_b64 s[12:13], s[12:13], exec
	s_and_b64 s[14:15], s[16:17], exec
	s_or_b64 s[8:9], s[6:7], s[8:9]
	s_and_b64 s[6:7], s[18:19], exec
	s_or_b64 s[12:13], s[12:13], s[14:15]
	s_or_b64 exec, exec, s[10:11]
	s_and_saveexec_b64 s[10:11], s[12:13]
	s_cbranch_execz .LBB10_7
.LBB10_118:
	s_trap 2
	; divergent unreachable
	s_andn2_b64 s[6:7], s[6:7], exec
                                        ; implicit-def: $vgpr4_vgpr5
	s_or_b64 exec, exec, s[10:11]
	s_and_saveexec_b64 s[10:11], s[6:7]
	s_xor_b64 s[6:7], exec, s[10:11]
	s_cbranch_execnz .LBB10_8
	s_branch .LBB10_9
.LBB10_119:
	s_movk_i32 s18, 0x80
	v_cmp_eq_u16_e32 vcc, s18, v2
	s_mov_b64 s[24:25], -1
                                        ; implicit-def: $sgpr20_sgpr21
	s_and_saveexec_b64 s[18:19], vcc
; %bb.120:
	s_mov_b32 s21, 0x7ff80000
	s_brev_b32 s20, 4
	s_xor_b64 s[24:25], exec, -1
; %bb.121:
	s_or_b64 exec, exec, s[18:19]
	s_and_b64 s[18:19], s[24:25], exec
	s_or_saveexec_b64 s[22:23], s[22:23]
	v_pk_mov_b32 v[4:5], s[20:21], s[20:21] op_sel:[0,1]
	s_xor_b64 exec, exec, s[22:23]
	s_cbranch_execz .LBB10_90
.LBB10_122:
	v_cmp_ne_u16_e32 vcc, 0, v2
	s_andn2_b64 s[18:19], s[18:19], exec
	s_and_b64 s[20:21], vcc, exec
	v_pk_mov_b32 v[4:5], 0, 0
	s_or_b64 s[18:19], s[18:19], s[20:21]
	s_or_b64 exec, exec, s[22:23]
	s_and_saveexec_b64 s[20:21], s[18:19]
	s_cbranch_execnz .LBB10_91
	s_branch .LBB10_92
.LBB10_123:
	s_movk_i32 s18, 0x80
	v_cmp_eq_u16_e32 vcc, s18, v2
	s_mov_b64 s[24:25], -1
                                        ; implicit-def: $sgpr20_sgpr21
	s_and_saveexec_b64 s[18:19], vcc
; %bb.124:
	s_mov_b32 s21, 0x7ff80000
	s_brev_b32 s20, 4
	s_xor_b64 s[24:25], exec, -1
; %bb.125:
	s_or_b64 exec, exec, s[18:19]
	s_and_b64 s[18:19], s[24:25], exec
	s_or_saveexec_b64 s[22:23], s[22:23]
	v_pk_mov_b32 v[4:5], s[20:21], s[20:21] op_sel:[0,1]
	s_xor_b64 exec, exec, s[22:23]
	s_cbranch_execz .LBB10_100
.LBB10_126:
	v_cmp_ne_u16_e32 vcc, 0, v2
	s_andn2_b64 s[18:19], s[18:19], exec
	s_and_b64 s[20:21], vcc, exec
	v_pk_mov_b32 v[4:5], 0, 0
	s_or_b64 s[18:19], s[18:19], s[20:21]
	s_or_b64 exec, exec, s[22:23]
	s_and_saveexec_b64 s[20:21], s[18:19]
	s_cbranch_execnz .LBB10_101
	s_branch .LBB10_102
.Lfunc_end10:
	.size	_ZN2at6native6invokeIZZZNS0_12_GLOBAL__N_137scaled_modified_bessel_k0_kernel_cudaERNS_18TensorIteratorBaseEENKUlvE_clEvENKUlvE_clEvEUldE_j15function_traitsIS7_EEENT1_11result_typeERKT_PrKPcPKT0_PKN3c1010ScalarTypeEi, .Lfunc_end10-_ZN2at6native6invokeIZZZNS0_12_GLOBAL__N_137scaled_modified_bessel_k0_kernel_cudaERNS_18TensorIteratorBaseEENKUlvE_clEvENKUlvE_clEvEUldE_j15function_traitsIS7_EEENT1_11result_typeERKT_PrKPcPKT0_PKN3c1010ScalarTypeEi
                                        ; -- End function
	.section	.AMDGPU.csdata,"",@progbits
; Function info:
; codeLenInByte = 7540
; NumSgprs: 36
; NumVgprs: 23
; NumAgprs: 0
; TotalNumVgprs: 23
; ScratchSize: 0
; MemoryBound: 1
	.section	.text._ZN2at6native32elementwise_kernel_manual_unrollILi128ELi4EZNS0_15gpu_kernel_implIZZZNS0_12_GLOBAL__N_137scaled_modified_bessel_k0_kernel_cudaERNS_18TensorIteratorBaseEENKUlvE_clEvENKUlvE_clEvEUldE_EEvS5_RKT_EUlibE0_EEviT1_,"axG",@progbits,_ZN2at6native32elementwise_kernel_manual_unrollILi128ELi4EZNS0_15gpu_kernel_implIZZZNS0_12_GLOBAL__N_137scaled_modified_bessel_k0_kernel_cudaERNS_18TensorIteratorBaseEENKUlvE_clEvENKUlvE_clEvEUldE_EEvS5_RKT_EUlibE0_EEviT1_,comdat
	.globl	_ZN2at6native32elementwise_kernel_manual_unrollILi128ELi4EZNS0_15gpu_kernel_implIZZZNS0_12_GLOBAL__N_137scaled_modified_bessel_k0_kernel_cudaERNS_18TensorIteratorBaseEENKUlvE_clEvENKUlvE_clEvEUldE_EEvS5_RKT_EUlibE0_EEviT1_ ; -- Begin function _ZN2at6native32elementwise_kernel_manual_unrollILi128ELi4EZNS0_15gpu_kernel_implIZZZNS0_12_GLOBAL__N_137scaled_modified_bessel_k0_kernel_cudaERNS_18TensorIteratorBaseEENKUlvE_clEvENKUlvE_clEvEUldE_EEvS5_RKT_EUlibE0_EEviT1_
	.p2align	8
	.type	_ZN2at6native32elementwise_kernel_manual_unrollILi128ELi4EZNS0_15gpu_kernel_implIZZZNS0_12_GLOBAL__N_137scaled_modified_bessel_k0_kernel_cudaERNS_18TensorIteratorBaseEENKUlvE_clEvENKUlvE_clEvEUldE_EEvS5_RKT_EUlibE0_EEviT1_,@function
_ZN2at6native32elementwise_kernel_manual_unrollILi128ELi4EZNS0_15gpu_kernel_implIZZZNS0_12_GLOBAL__N_137scaled_modified_bessel_k0_kernel_cudaERNS_18TensorIteratorBaseEENKUlvE_clEvENKUlvE_clEvEUldE_EEvS5_RKT_EUlibE0_EEviT1_: ; @_ZN2at6native32elementwise_kernel_manual_unrollILi128ELi4EZNS0_15gpu_kernel_implIZZZNS0_12_GLOBAL__N_137scaled_modified_bessel_k0_kernel_cudaERNS_18TensorIteratorBaseEENKUlvE_clEvENKUlvE_clEvEUldE_EEvS5_RKT_EUlibE0_EEviT1_
; %bb.0:
	s_load_dword s74, s[4:5], 0x0
	s_load_dword s33, s[4:5], 0x8
	s_add_u32 flat_scratch_lo, s6, s9
	s_addc_u32 flat_scratch_hi, s7, 0
	s_add_u32 s0, s0, s9
	s_mov_b64 s[28:29], s[4:5]
	s_addc_u32 s1, s1, 0
	s_or_b32 s34, s28, 8
	v_lshl_or_b32 v26, s8, 9, v0
	s_waitcnt lgkmcnt(0)
	s_add_i32 s76, s33, -1
	v_or_b32_e32 v6, 0x180, v26
	s_cmp_gt_u32 s76, 1
	s_mov_b32 s35, s5
	v_cmp_le_i32_e32 vcc, s74, v6
	s_cselect_b64 s[50:51], -1, 0
	s_mov_b64 s[48:49], 0
	s_mov_b64 s[40:41], 0
	s_mov_b32 s32, 0
	s_and_saveexec_b64 s[4:5], vcc
	s_xor_b64 s[52:53], exec, s[4:5]
	s_cbranch_execz .LBB11_570
; %bb.1:
	v_mov_b32_e32 v0, 0
	global_load_ushort v27, v0, s[34:35] offset:345
	s_load_dwordx4 s[44:47], s[34:35], 0x4
	s_load_dwordx2 s[54:55], s[34:35], 0x14
	s_load_dwordx4 s[40:43], s[34:35], 0xc4
	s_load_dwordx4 s[36:39], s[34:35], 0x148
	s_cmp_lg_u32 s33, 0
	s_cselect_b64 s[60:61], -1, 0
	s_add_u32 s58, s34, 0xc4
	s_addc_u32 s59, s35, 0
	s_min_u32 s77, s76, 15
	s_cmp_gt_u32 s33, 1
	v_cmp_gt_i32_e32 vcc, s74, v26
	s_mov_b64 s[4:5], -1
	s_mov_b64 s[68:69], 0
	s_cselect_b64 s[56:57], -1, 0
	s_mov_b64 s[62:63], 0
	s_waitcnt vmcnt(0)
	v_lshrrev_b16_e32 v23, 8, v27
	s_and_saveexec_b64 s[64:65], vcc
                                        ; implicit-def: $vgpr2_vgpr3
	s_cbranch_execz .LBB11_139
; %bb.2:
	s_andn2_b64 vcc, exec, s[50:51]
	s_cbranch_vccnz .LBB11_8
; %bb.3:
	s_mov_b32 s24, 0
	s_andn2_b64 vcc, exec, s[60:61]
	v_mov_b32_e32 v2, 0
	v_mov_b32_e32 v24, 0
	s_cbranch_vccnz .LBB11_14
; %bb.4:
	s_add_i32 s62, s77, 1
	s_cmp_eq_u32 s76, 2
	s_cbranch_scc1 .LBB11_9
; %bb.5:
	s_and_b32 s24, s62, 28
	s_mov_b32 s25, 0
	v_mov_b32_e32 v24, 0
	s_mov_b64 s[26:27], s[34:35]
	s_mov_b64 s[30:31], s[58:59]
	v_mov_b32_e32 v0, v26
	v_mov_b32_e32 v2, 0
.LBB11_6:                               ; =>This Inner Loop Header: Depth=1
	s_load_dwordx8 s[12:19], s[26:27], 0x4
	s_load_dwordx4 s[20:23], s[26:27], 0x24
	s_load_dwordx8 s[4:11], s[30:31], 0x0
	s_add_u32 s26, s26, 48
	s_addc_u32 s27, s27, 0
	s_waitcnt lgkmcnt(0)
	v_mul_hi_u32 v1, s13, v0
	v_add_u32_e32 v1, v0, v1
	v_lshrrev_b32_e32 v1, s14, v1
	v_mul_lo_u32 v3, v1, s12
	v_mul_hi_u32 v4, s16, v1
	v_sub_u32_e32 v0, v0, v3
	v_add_u32_e32 v3, v1, v4
	v_lshrrev_b32_e32 v3, s17, v3
	v_mul_lo_u32 v5, v3, s15
	v_mul_hi_u32 v6, s19, v3
	v_sub_u32_e32 v1, v1, v5
	v_add_u32_e32 v5, v3, v6
	v_mul_lo_u32 v4, v0, s5
	v_mul_lo_u32 v0, v0, s4
	;; [unrolled: 1-line block ×4, first 2 shown]
	v_lshrrev_b32_e32 v5, s20, v5
	v_add3_u32 v1, v0, v24, v1
	v_add3_u32 v2, v4, v2, v6
	v_mul_lo_u32 v0, v5, s18
	v_mul_hi_u32 v4, s22, v5
	v_sub_u32_e32 v0, v3, v0
	v_add_u32_e32 v3, v5, v4
	v_mul_lo_u32 v4, v0, s8
	v_mul_lo_u32 v6, v0, s9
	v_lshrrev_b32_e32 v0, s23, v3
	s_add_i32 s25, s25, 4
	v_mul_lo_u32 v3, v0, s21
	s_add_u32 s30, s30, 32
	v_sub_u32_e32 v3, v5, v3
	s_addc_u32 s31, s31, 0
	v_mul_lo_u32 v5, v3, s10
	v_mul_lo_u32 v3, v3, s11
	s_cmp_lg_u32 s24, s25
	v_add3_u32 v2, v6, v2, v3
	v_add3_u32 v24, v4, v1, v5
	s_cbranch_scc1 .LBB11_6
; %bb.7:
	v_mov_b32_e32 v25, v2
	s_branch .LBB11_10
.LBB11_8:
                                        ; implicit-def: $vgpr2
                                        ; implicit-def: $vgpr24
	s_andn2_b64 vcc, exec, s[4:5]
	s_cbranch_vccz .LBB11_15
	s_branch .LBB11_17
.LBB11_9:
	s_mov_b32 s25, s24
	v_pk_mov_b32 v[24:25], s[24:25], s[24:25] op_sel:[0,1]
                                        ; implicit-def: $vgpr2
	v_mov_b32_e32 v0, v26
.LBB11_10:
	s_and_b32 s8, s62, 3
	s_cmp_eq_u32 s8, 0
	s_cbranch_scc1 .LBB11_14
; %bb.11:
	s_lshl_b32 s4, s24, 3
	s_add_u32 s4, s4, s34
	s_addc_u32 s5, s35, 0
	s_add_u32 s4, s4, 0xc4
	s_addc_u32 s5, s5, 0
	s_mul_i32 s6, s24, 12
	s_add_u32 s6, s34, s6
	s_addc_u32 s7, s35, 0
.LBB11_12:                              ; =>This Inner Loop Header: Depth=1
	s_load_dwordx2 s[10:11], s[6:7], 0x4
	s_load_dword s9, s[6:7], 0xc
	s_load_dwordx2 s[12:13], s[4:5], 0x0
	s_add_u32 s6, s6, 12
	s_addc_u32 s7, s7, 0
	s_waitcnt lgkmcnt(0)
	v_mul_hi_u32 v1, s11, v0
	v_add_u32_e32 v1, v0, v1
	v_lshrrev_b32_e32 v1, s9, v1
	v_mul_lo_u32 v3, v1, s10
	v_mov_b32_e32 v2, v25
	s_add_u32 s4, s4, 8
	v_sub_u32_e32 v4, v0, v3
	s_addc_u32 s5, s5, 0
	s_add_i32 s8, s8, -1
	v_mad_u64_u32 v[2:3], s[10:11], v4, s13, v[2:3]
	v_mad_u64_u32 v[24:25], s[10:11], v4, s12, v[24:25]
	s_cmp_lg_u32 s8, 0
	v_mov_b32_e32 v0, v1
	v_mov_b32_e32 v25, v2
	s_cbranch_scc1 .LBB11_12
; %bb.13:
	v_mov_b32_e32 v2, v25
.LBB11_14:
	s_cbranch_execnz .LBB11_17
.LBB11_15:
	s_waitcnt lgkmcnt(0)
	v_mul_hi_u32 v0, s45, v26
	v_add_u32_e32 v0, v26, v0
	v_lshrrev_b32_e32 v0, s46, v0
	v_mul_lo_u32 v1, v0, s44
	v_sub_u32_e32 v1, v26, v1
	v_mul_lo_u32 v2, v1, s41
	s_andn2_b64 vcc, exec, s[56:57]
	v_mul_lo_u32 v24, v1, s40
	s_cbranch_vccnz .LBB11_17
; %bb.16:
	v_mul_hi_u32 v1, s54, v0
	v_add_u32_e32 v1, v0, v1
	v_lshrrev_b32_e32 v1, s55, v1
	v_mul_lo_u32 v1, v1, s47
	v_sub_u32_e32 v0, v0, v1
	v_mad_u64_u32 v[24:25], s[4:5], v0, s42, v[24:25]
	v_mad_u64_u32 v[2:3], s[4:5], v0, s43, v[2:3]
.LBB11_17:
	s_waitcnt lgkmcnt(0)
	v_mov_b32_e32 v0, s38
	v_mov_b32_e32 v1, s39
	;; [unrolled: 1-line block ×3, first 2 shown]
	s_getpc_b64 s[4:5]
	s_add_u32 s4, s4, _ZN2at6native6invokeIZZZNS0_12_GLOBAL__N_137scaled_modified_bessel_k0_kernel_cudaERNS_18TensorIteratorBaseEENKUlvE_clEvENKUlvE_clEvEUldE_j15function_traitsIS7_EEENT1_11result_typeERKT_PrKPcPKT0_PKN3c1010ScalarTypeEi@rel32@lo+4
	s_addc_u32 s5, s5, _ZN2at6native6invokeIZZZNS0_12_GLOBAL__N_137scaled_modified_bessel_k0_kernel_cudaERNS_18TensorIteratorBaseEENKUlvE_clEvENKUlvE_clEvEUldE_j15function_traitsIS7_EEENT1_11result_typeERKT_PrKPcPKT0_PKN3c1010ScalarTypeEi@rel32@hi+12
	s_swappc_b64 s[30:31], s[4:5]
	v_mov_b32_e32 v2, s37
	v_add_co_u32_e32 v4, vcc, s36, v24
	v_addc_co_u32_e32 v5, vcc, 0, v2, vcc
	v_mov_b32_e32 v2, 11
	v_cmp_lt_i16_sdwa s[4:5], v27, v2 src0_sel:BYTE_0 src1_sel:DWORD
	s_and_b64 vcc, exec, s[4:5]
	s_cbranch_vccnz .LBB11_24
; %bb.18:
	v_mov_b32_e32 v2, 25
	v_cmp_gt_i16_sdwa s[4:5], v27, v2 src0_sel:BYTE_0 src1_sel:DWORD
	s_and_b64 vcc, exec, s[4:5]
	s_cbranch_vccz .LBB11_27
; %bb.19:
	v_mov_b32_e32 v2, 28
	v_cmp_gt_i16_sdwa s[4:5], v27, v2 src0_sel:BYTE_0 src1_sel:DWORD
	s_and_b64 vcc, exec, s[4:5]
	s_cbranch_vccz .LBB11_28
	;; [unrolled: 5-line block ×4, first 2 shown]
; %bb.22:
	v_mov_b32_e32 v2, 46
	v_cmp_eq_u16_sdwa s[6:7], v27, v2 src0_sel:BYTE_0 src1_sel:DWORD
	s_mov_b64 s[8:9], 0
	s_mov_b64 s[4:5], -1
	s_and_b64 vcc, exec, s[6:7]
	s_mov_b64 s[6:7], 0
	s_cbranch_vccz .LBB11_31
; %bb.23:
	v_cvt_f32_f64_e32 v2, v[0:1]
	v_bfe_u32 v3, v2, 16, 1
	s_movk_i32 s4, 0x7fff
	v_add3_u32 v3, v2, v3, s4
	v_lshrrev_b32_e32 v3, 16, v3
	v_mov_b32_e32 v6, 0x7fc0
	v_cmp_o_f32_e32 vcc, v2, v2
	v_cndmask_b32_e32 v2, v6, v3, vcc
	global_store_dword v[4:5], v2, off
	s_mov_b64 s[6:7], -1
	s_mov_b64 s[4:5], 0
	s_branch .LBB11_31
.LBB11_24:
	s_mov_b64 s[4:5], 0
	s_mov_b64 s[6:7], 0
	s_cbranch_execnz .LBB11_99
.LBB11_25:
	s_andn2_b64 vcc, exec, s[6:7]
	s_cbranch_vccnz .LBB11_137
.LBB11_26:
	v_add_u32_e32 v26, 0x80, v26
	s_mov_b64 s[6:7], -1
	s_branch .LBB11_138
.LBB11_27:
	s_mov_b64 s[4:5], 0
	s_mov_b64 s[6:7], 0
	s_cbranch_execnz .LBB11_58
	s_branch .LBB11_98
.LBB11_28:
	s_mov_b64 s[8:9], -1
	s_mov_b64 s[4:5], 0
	s_mov_b64 s[6:7], 0
	s_branch .LBB11_41
.LBB11_29:
	s_mov_b64 s[8:9], -1
	s_mov_b64 s[4:5], 0
	s_mov_b64 s[6:7], 0
	s_branch .LBB11_37
.LBB11_30:
	s_mov_b64 s[8:9], -1
	s_mov_b64 s[4:5], 0
	s_mov_b64 s[6:7], 0
.LBB11_31:
	s_and_b64 vcc, exec, s[8:9]
	s_cbranch_vccz .LBB11_36
; %bb.32:
	v_mov_b32_e32 v2, 44
	v_cmp_eq_u16_sdwa s[8:9], v27, v2 src0_sel:BYTE_0 src1_sel:DWORD
	s_mov_b64 s[4:5], -1
	s_and_b64 vcc, exec, s[8:9]
	s_cbranch_vccz .LBB11_36
; %bb.33:
	v_cvt_f32_f64_e32 v2, v[0:1]
	v_bfe_u32 v3, v2, 23, 8
	s_movk_i32 s4, 0xff
	v_cmp_ne_u32_e32 vcc, s4, v3
	v_mov_b32_e32 v6, 0xff
	s_and_saveexec_b64 s[6:7], vcc
; %bb.34:
	s_mov_b32 s4, 0x3fffff
	v_lshrrev_b32_e32 v6, 23, v2
	v_and_b32_e32 v7, 0x400000, v2
	v_and_or_b32 v2, v2, s4, v3
	v_cmp_ne_u32_e32 vcc, 0, v7
	v_cmp_ne_u32_e64 s[4:5], 0, v2
	s_and_b64 s[4:5], vcc, s[4:5]
	v_cndmask_b32_e64 v2, 0, 1, s[4:5]
	v_add_u32_e32 v6, v6, v2
; %bb.35:
	s_or_b64 exec, exec, s[6:7]
	s_mov_b64 s[6:7], -1
	s_mov_b64 s[4:5], 0
	global_store_byte v[4:5], v6, off
.LBB11_36:
	s_mov_b64 s[8:9], 0
.LBB11_37:
	s_and_b64 vcc, exec, s[8:9]
	s_cbranch_vccz .LBB11_40
; %bb.38:
	v_mov_b32_e32 v2, 29
	v_cmp_eq_u16_sdwa s[8:9], v27, v2 src0_sel:BYTE_0 src1_sel:DWORD
	s_mov_b64 s[4:5], -1
	s_and_b64 vcc, exec, s[8:9]
	s_cbranch_vccz .LBB11_40
; %bb.39:
	v_trunc_f64_e32 v[2:3], v[0:1]
	s_movk_i32 s4, 0xffe0
	v_ldexp_f64 v[6:7], v[2:3], s4
	v_floor_f64_e32 v[6:7], v[6:7]
	v_fmac_f64_e32 v[2:3], 0xc1f00000, v[6:7]
	v_cvt_u32_f64_e32 v9, v[6:7]
	v_cvt_u32_f64_e32 v8, v[2:3]
	global_store_dwordx2 v[4:5], v[8:9], off
	s_mov_b64 s[6:7], -1
	s_mov_b64 s[4:5], 0
.LBB11_40:
	s_mov_b64 s[8:9], 0
.LBB11_41:
	s_and_b64 vcc, exec, s[8:9]
	s_cbranch_vccz .LBB11_57
; %bb.42:
	v_mov_b32_e32 v2, 27
	v_cmp_lt_i16_sdwa s[8:9], v27, v2 src0_sel:BYTE_0 src1_sel:DWORD
	s_mov_b64 s[6:7], -1
	s_and_b64 vcc, exec, s[8:9]
	s_cbranch_vccnz .LBB11_48
; %bb.43:
	v_cmp_gt_i16_sdwa s[8:9], v27, v2 src0_sel:BYTE_0 src1_sel:DWORD
	s_and_b64 vcc, exec, s[8:9]
	s_cbranch_vccz .LBB11_45
; %bb.44:
	v_cvt_u32_f64_e32 v2, v[0:1]
	s_mov_b64 s[6:7], 0
	global_store_dword v[4:5], v2, off
.LBB11_45:
	s_andn2_b64 vcc, exec, s[6:7]
	s_cbranch_vccnz .LBB11_47
; %bb.46:
	v_cvt_u32_f64_e32 v2, v[0:1]
	global_store_short v[4:5], v2, off
.LBB11_47:
	s_mov_b64 s[6:7], 0
.LBB11_48:
	s_andn2_b64 vcc, exec, s[6:7]
	s_cbranch_vccnz .LBB11_56
; %bb.49:
	v_cvt_f32_f64_e32 v2, v[0:1]
	v_and_b32_e32 v3, 0x7fffffff, v2
	s_mov_b32 s6, 0x43800000
	v_cmp_gt_u32_e32 vcc, s6, v3
	v_mov_b32_e32 v6, 0x80
	s_and_saveexec_b64 s[6:7], vcc
	s_cbranch_execz .LBB11_55
; %bb.50:
	s_mov_b32 s8, 0x3bffffff
	v_cmp_lt_u32_e32 vcc, s8, v3
	s_mov_b64 s[8:9], 0
                                        ; implicit-def: $vgpr3
	s_and_saveexec_b64 s[10:11], vcc
	s_xor_b64 s[10:11], exec, s[10:11]
	s_cbranch_execz .LBB11_171
; %bb.51:
	v_bfe_u32 v3, v2, 20, 1
	s_mov_b32 s12, 0x487ffff
	v_add3_u32 v3, v2, v3, s12
	s_mov_b64 s[8:9], exec
	v_lshrrev_b32_e32 v3, 20, v3
	s_or_saveexec_b64 s[10:11], s[10:11]
                                        ; implicit-def: $sgpr12
	s_xor_b64 exec, exec, s[10:11]
	s_cbranch_execnz .LBB11_172
.LBB11_52:
	s_or_b64 exec, exec, s[10:11]
	v_mov_b32_e32 v6, s12
	s_and_saveexec_b64 s[10:11], s[8:9]
.LBB11_53:
	v_lshrrev_b32_e32 v2, 24, v2
	s_movk_i32 s8, 0x80
	v_and_or_b32 v6, v2, s8, v3
.LBB11_54:
	s_or_b64 exec, exec, s[10:11]
.LBB11_55:
	s_or_b64 exec, exec, s[6:7]
	global_store_byte v[4:5], v6, off
.LBB11_56:
	s_mov_b64 s[6:7], -1
.LBB11_57:
	s_branch .LBB11_98
.LBB11_58:
	v_mov_b32_e32 v2, 22
	v_cmp_gt_i16_sdwa s[10:11], v27, v2 src0_sel:BYTE_0 src1_sel:DWORD
	s_mov_b64 s[8:9], -1
	s_and_b64 vcc, exec, s[10:11]
	s_cbranch_vccz .LBB11_90
; %bb.59:
	v_mov_b32_e32 v2, 24
	v_cmp_lt_i16_sdwa s[8:9], v27, v2 src0_sel:BYTE_0 src1_sel:DWORD
	s_mov_b64 s[6:7], -1
	s_and_b64 vcc, exec, s[8:9]
	s_cbranch_vccnz .LBB11_79
; %bb.60:
	v_cmp_gt_i16_sdwa s[8:9], v27, v2 src0_sel:BYTE_0 src1_sel:DWORD
	s_and_b64 vcc, exec, s[8:9]
	s_cbranch_vccz .LBB11_68
; %bb.61:
	v_cvt_f32_f64_e32 v2, v[0:1]
	v_and_b32_e32 v3, 0x7fffffff, v2
	s_mov_b32 s6, 0x47800000
	v_cmp_gt_u32_e32 vcc, s6, v3
	v_mov_b32_e32 v6, 0x80
	s_and_saveexec_b64 s[6:7], vcc
	s_cbranch_execz .LBB11_67
; %bb.62:
	s_mov_b32 s8, 0x37ffffff
	v_cmp_lt_u32_e32 vcc, s8, v3
	s_mov_b64 s[8:9], 0
                                        ; implicit-def: $vgpr3
	s_and_saveexec_b64 s[10:11], vcc
	s_xor_b64 s[10:11], exec, s[10:11]
	s_cbranch_execz .LBB11_174
; %bb.63:
	v_bfe_u32 v3, v2, 21, 1
	s_mov_b32 s12, 0x88fffff
	v_add3_u32 v3, v2, v3, s12
	s_mov_b64 s[8:9], exec
	v_lshrrev_b32_e32 v3, 21, v3
	s_or_saveexec_b64 s[10:11], s[10:11]
                                        ; implicit-def: $sgpr12
	s_xor_b64 exec, exec, s[10:11]
	s_cbranch_execnz .LBB11_175
.LBB11_64:
	s_or_b64 exec, exec, s[10:11]
	v_mov_b32_e32 v6, s12
	s_and_saveexec_b64 s[10:11], s[8:9]
.LBB11_65:
	v_lshrrev_b32_e32 v2, 24, v2
	s_movk_i32 s8, 0x80
	v_and_or_b32 v6, v2, s8, v3
.LBB11_66:
	s_or_b64 exec, exec, s[10:11]
.LBB11_67:
	s_or_b64 exec, exec, s[6:7]
	s_mov_b64 s[6:7], 0
	global_store_byte v[4:5], v6, off
.LBB11_68:
	s_and_b64 vcc, exec, s[6:7]
	s_cbranch_vccz .LBB11_78
; %bb.69:
	v_cvt_f32_f64_e32 v2, v[0:1]
	v_and_b32_e32 v6, 0x7fffffff, v2
	s_mov_b32 s6, 0x43f00000
	v_cmp_gt_u32_e32 vcc, s6, v6
                                        ; implicit-def: $vgpr3
	s_and_saveexec_b64 s[6:7], vcc
	s_xor_b64 s[6:7], exec, s[6:7]
	s_cbranch_execz .LBB11_75
; %bb.70:
	s_mov_b32 s8, 0x3c7fffff
	v_cmp_lt_u32_e32 vcc, s8, v6
                                        ; implicit-def: $vgpr3
	s_and_saveexec_b64 s[8:9], vcc
	s_xor_b64 s[8:9], exec, s[8:9]
; %bb.71:
	v_bfe_u32 v3, v2, 20, 1
	s_mov_b32 s10, 0x407ffff
	v_add3_u32 v3, v2, v3, s10
	v_lshrrev_b32_e32 v6, 20, v3
	v_and_b32_e32 v3, 0xff00000, v3
	s_mov_b32 s10, 0x7f00000
	v_mov_b32_e32 v7, 0x7e
	v_cmp_ne_u32_e32 vcc, s10, v3
	v_cndmask_b32_e32 v3, v7, v6, vcc
; %bb.72:
	s_andn2_saveexec_b64 s[8:9], s[8:9]
; %bb.73:
	s_mov_b32 s10, 0x46800000
	v_add_f32_e64 v3, |v2|, s10
; %bb.74:
	s_or_b64 exec, exec, s[8:9]
                                        ; implicit-def: $vgpr6
.LBB11_75:
	s_andn2_saveexec_b64 s[6:7], s[6:7]
; %bb.76:
	s_mov_b32 s8, 0x7f800000
	v_mov_b32_e32 v3, 0x7e
	v_mov_b32_e32 v7, 0x7f
	v_cmp_lt_u32_e32 vcc, s8, v6
	v_cndmask_b32_e32 v3, v3, v7, vcc
; %bb.77:
	s_or_b64 exec, exec, s[6:7]
	v_lshrrev_b32_e32 v2, 24, v2
	s_movk_i32 s6, 0x80
	v_and_or_b32 v2, v2, s6, v3
	global_store_byte v[4:5], v2, off
.LBB11_78:
	s_mov_b64 s[6:7], 0
.LBB11_79:
	s_andn2_b64 vcc, exec, s[6:7]
	s_cbranch_vccnz .LBB11_89
; %bb.80:
	v_cvt_f32_f64_e32 v2, v[0:1]
	v_and_b32_e32 v6, 0x7fffffff, v2
	s_mov_b32 s6, 0x47800000
	v_cmp_gt_u32_e32 vcc, s6, v6
                                        ; implicit-def: $vgpr3
	s_and_saveexec_b64 s[6:7], vcc
	s_xor_b64 s[6:7], exec, s[6:7]
	s_cbranch_execz .LBB11_86
; %bb.81:
	s_mov_b32 s8, 0x387fffff
	v_cmp_lt_u32_e32 vcc, s8, v6
                                        ; implicit-def: $vgpr3
	s_and_saveexec_b64 s[8:9], vcc
	s_xor_b64 s[8:9], exec, s[8:9]
; %bb.82:
	v_bfe_u32 v3, v2, 21, 1
	s_mov_b32 s10, 0x80fffff
	v_add3_u32 v3, v2, v3, s10
	v_lshrrev_b32_e32 v3, 21, v3
; %bb.83:
	s_andn2_saveexec_b64 s[8:9], s[8:9]
; %bb.84:
	s_mov_b32 s10, 0x43000000
	v_add_f32_e64 v3, |v2|, s10
; %bb.85:
	s_or_b64 exec, exec, s[8:9]
                                        ; implicit-def: $vgpr6
.LBB11_86:
	s_andn2_saveexec_b64 s[6:7], s[6:7]
; %bb.87:
	s_mov_b32 s8, 0x7f800000
	v_mov_b32_e32 v3, 0x7c
	v_mov_b32_e32 v7, 0x7f
	v_cmp_lt_u32_e32 vcc, s8, v6
	v_cndmask_b32_e32 v3, v3, v7, vcc
; %bb.88:
	s_or_b64 exec, exec, s[6:7]
	v_lshrrev_b32_e32 v2, 24, v2
	s_movk_i32 s6, 0x80
	v_and_or_b32 v2, v2, s6, v3
	global_store_byte v[4:5], v2, off
.LBB11_89:
	s_mov_b64 s[8:9], 0
	s_mov_b64 s[6:7], -1
.LBB11_90:
	s_andn2_b64 vcc, exec, s[8:9]
	s_cbranch_vccnz .LBB11_98
; %bb.91:
	v_mov_b32_e32 v2, 14
	v_cmp_gt_i16_sdwa s[10:11], v27, v2 src0_sel:BYTE_0 src1_sel:DWORD
	s_mov_b64 s[8:9], -1
	s_and_b64 vcc, exec, s[10:11]
	s_cbranch_vccz .LBB11_95
; %bb.92:
	v_mov_b32_e32 v2, 15
	v_cmp_eq_u16_sdwa s[8:9], v27, v2 src0_sel:BYTE_0 src1_sel:DWORD
	s_mov_b64 s[4:5], -1
	s_and_b64 vcc, exec, s[8:9]
	s_cbranch_vccz .LBB11_94
; %bb.93:
	v_cvt_f32_f64_e32 v2, v[0:1]
	v_bfe_u32 v3, v2, 16, 1
	s_movk_i32 s4, 0x7fff
	v_add3_u32 v3, v2, v3, s4
	v_lshrrev_b32_e32 v3, 16, v3
	v_mov_b32_e32 v6, 0x7fc0
	v_cmp_o_f32_e32 vcc, v2, v2
	v_cndmask_b32_e32 v2, v6, v3, vcc
	global_store_short v[4:5], v2, off
	s_mov_b64 s[6:7], -1
	s_mov_b64 s[4:5], 0
.LBB11_94:
	s_mov_b64 s[8:9], 0
.LBB11_95:
	s_and_b64 vcc, exec, s[8:9]
	s_cbranch_vccz .LBB11_98
; %bb.96:
	v_mov_b32_e32 v2, 11
	v_cmp_eq_u16_sdwa s[8:9], v27, v2 src0_sel:BYTE_0 src1_sel:DWORD
	s_mov_b64 s[4:5], -1
	s_and_b64 vcc, exec, s[8:9]
	s_cbranch_vccz .LBB11_98
; %bb.97:
	v_cmp_neq_f64_e32 vcc, 0, v[0:1]
	s_mov_b64 s[4:5], 0
	v_cndmask_b32_e64 v2, 0, 1, vcc
	s_mov_b64 s[6:7], -1
	global_store_byte v[4:5], v2, off
.LBB11_98:
	s_branch .LBB11_25
.LBB11_99:
	v_mov_b32_e32 v2, 5
	v_cmp_lt_i16_sdwa s[8:9], v27, v2 src0_sel:BYTE_0 src1_sel:DWORD
	s_mov_b64 s[6:7], -1
	s_and_b64 vcc, exec, s[8:9]
	s_cbranch_vccnz .LBB11_120
; %bb.100:
	v_mov_b32_e32 v2, 8
	v_cmp_lt_i16_sdwa s[8:9], v27, v2 src0_sel:BYTE_0 src1_sel:DWORD
	s_and_b64 vcc, exec, s[8:9]
	s_cbranch_vccnz .LBB11_110
; %bb.101:
	v_mov_b32_e32 v2, 9
	v_cmp_lt_i16_sdwa s[8:9], v27, v2 src0_sel:BYTE_0 src1_sel:DWORD
	s_and_b64 vcc, exec, s[8:9]
	s_cbranch_vccnz .LBB11_107
; %bb.102:
	v_cmp_gt_i16_sdwa s[8:9], v27, v2 src0_sel:BYTE_0 src1_sel:DWORD
	s_and_b64 vcc, exec, s[8:9]
	s_cbranch_vccz .LBB11_104
; %bb.103:
	v_mov_b32_e32 v2, 0
	v_mov_b32_e32 v3, v2
	global_store_dwordx4 v[4:5], v[0:3], off
	s_mov_b64 s[6:7], 0
.LBB11_104:
	s_andn2_b64 vcc, exec, s[6:7]
	s_cbranch_vccnz .LBB11_106
; %bb.105:
	v_cvt_f32_f64_e32 v2, v[0:1]
	v_mov_b32_e32 v3, 0
	global_store_dwordx2 v[4:5], v[2:3], off
.LBB11_106:
	s_mov_b64 s[6:7], 0
.LBB11_107:
	s_andn2_b64 vcc, exec, s[6:7]
	s_cbranch_vccnz .LBB11_109
; %bb.108:
	v_cvt_f32_f64_e32 v2, v[0:1]
	v_cvt_f16_f32_e32 v2, v2
	global_store_dword v[4:5], v2, off
.LBB11_109:
	s_mov_b64 s[6:7], 0
.LBB11_110:
	s_andn2_b64 vcc, exec, s[6:7]
	s_cbranch_vccnz .LBB11_119
; %bb.111:
	v_mov_b32_e32 v2, 6
	v_cmp_lt_i16_sdwa s[8:9], v27, v2 src0_sel:BYTE_0 src1_sel:DWORD
	s_mov_b64 s[6:7], -1
	s_and_b64 vcc, exec, s[8:9]
	s_cbranch_vccnz .LBB11_117
; %bb.112:
	v_cmp_gt_i16_sdwa s[8:9], v27, v2 src0_sel:BYTE_0 src1_sel:DWORD
	s_and_b64 vcc, exec, s[8:9]
	s_cbranch_vccz .LBB11_114
; %bb.113:
	global_store_dwordx2 v[4:5], v[0:1], off
	s_mov_b64 s[6:7], 0
.LBB11_114:
	s_andn2_b64 vcc, exec, s[6:7]
	s_cbranch_vccnz .LBB11_116
; %bb.115:
	v_cvt_f32_f64_e32 v2, v[0:1]
	global_store_dword v[4:5], v2, off
.LBB11_116:
	s_mov_b64 s[6:7], 0
.LBB11_117:
	s_andn2_b64 vcc, exec, s[6:7]
	s_cbranch_vccnz .LBB11_119
; %bb.118:
	v_cvt_f32_f64_e32 v2, v[0:1]
	v_cvt_f16_f32_e32 v2, v2
	global_store_short v[4:5], v2, off
.LBB11_119:
	s_mov_b64 s[6:7], 0
.LBB11_120:
	s_andn2_b64 vcc, exec, s[6:7]
	s_cbranch_vccnz .LBB11_136
; %bb.121:
	v_mov_b32_e32 v2, 2
	v_cmp_lt_i16_sdwa s[8:9], v27, v2 src0_sel:BYTE_0 src1_sel:DWORD
	s_mov_b64 s[6:7], -1
	s_and_b64 vcc, exec, s[8:9]
	s_cbranch_vccnz .LBB11_131
; %bb.122:
	v_mov_b32_e32 v2, 3
	v_cmp_lt_i16_sdwa s[8:9], v27, v2 src0_sel:BYTE_0 src1_sel:DWORD
	s_and_b64 vcc, exec, s[8:9]
	s_cbranch_vccnz .LBB11_128
; %bb.123:
	v_cmp_gt_i16_sdwa s[8:9], v27, v2 src0_sel:BYTE_0 src1_sel:DWORD
	s_and_b64 vcc, exec, s[8:9]
	s_cbranch_vccz .LBB11_125
; %bb.124:
	v_trunc_f64_e32 v[2:3], v[0:1]
	s_movk_i32 s6, 0xffe0
	v_ldexp_f64 v[6:7], v[2:3], s6
	v_floor_f64_e32 v[6:7], v[6:7]
	v_fmac_f64_e32 v[2:3], 0xc1f00000, v[6:7]
	v_cvt_i32_f64_e32 v9, v[6:7]
	v_cvt_u32_f64_e32 v8, v[2:3]
	global_store_dwordx2 v[4:5], v[8:9], off
	s_mov_b64 s[6:7], 0
.LBB11_125:
	s_andn2_b64 vcc, exec, s[6:7]
	s_cbranch_vccnz .LBB11_127
; %bb.126:
	v_cvt_i32_f64_e32 v2, v[0:1]
	global_store_dword v[4:5], v2, off
.LBB11_127:
	s_mov_b64 s[6:7], 0
.LBB11_128:
	s_andn2_b64 vcc, exec, s[6:7]
	s_cbranch_vccnz .LBB11_130
; %bb.129:
	v_cvt_i32_f64_e32 v2, v[0:1]
	global_store_short v[4:5], v2, off
.LBB11_130:
	s_mov_b64 s[6:7], 0
.LBB11_131:
	s_andn2_b64 vcc, exec, s[6:7]
	s_cbranch_vccnz .LBB11_136
; %bb.132:
	v_mov_b32_e32 v2, 0
	v_cmp_gt_i16_sdwa s[8:9], v27, v2 src0_sel:BYTE_0 src1_sel:DWORD
	s_mov_b64 s[6:7], -1
	s_and_b64 vcc, exec, s[8:9]
	s_cbranch_vccz .LBB11_134
; %bb.133:
	v_cvt_i32_f64_e32 v2, v[0:1]
	global_store_byte v[4:5], v2, off
	s_mov_b64 s[6:7], 0
.LBB11_134:
	s_andn2_b64 vcc, exec, s[6:7]
	s_cbranch_vccnz .LBB11_136
; %bb.135:
	v_trunc_f64_e32 v[0:1], v[0:1]
	s_movk_i32 s6, 0xffe0
	v_ldexp_f64 v[2:3], v[0:1], s6
	v_floor_f64_e32 v[2:3], v[2:3]
	v_fmac_f64_e32 v[0:1], 0xc1f00000, v[2:3]
	v_cvt_u32_f64_e32 v0, v[0:1]
	global_store_byte v[4:5], v0, off
.LBB11_136:
	s_branch .LBB11_26
.LBB11_137:
	s_mov_b64 s[6:7], 0
                                        ; implicit-def: $vgpr26
.LBB11_138:
	s_and_b64 s[62:63], s[4:5], exec
	s_orn2_b64 s[4:5], s[6:7], exec
.LBB11_139:
	s_or_b64 exec, exec, s[64:65]
	s_mov_b64 s[6:7], 0
                                        ; implicit-def: $vgpr6
                                        ; implicit-def: $vgpr4_vgpr5
                                        ; implicit-def: $vgpr0_vgpr1
	s_and_saveexec_b64 s[64:65], s[4:5]
	s_cbranch_execz .LBB11_147
; %bb.140:
	v_cmp_gt_i32_e32 vcc, s74, v26
	s_mov_b64 s[8:9], -1
	s_mov_b64 s[66:67], s[62:63]
	s_and_saveexec_b64 s[68:69], vcc
	s_cbranch_execz .LBB11_286
; %bb.141:
	s_andn2_b64 vcc, exec, s[50:51]
	s_cbranch_vccnz .LBB11_150
; %bb.142:
	s_mov_b32 s24, 0
	s_andn2_b64 vcc, exec, s[60:61]
	v_mov_b32_e32 v2, 0
	v_mov_b32_e32 v24, 0
	s_cbranch_vccnz .LBB11_156
; %bb.143:
	s_add_i32 s66, s77, 1
	s_cmp_eq_u32 s76, 2
	s_cbranch_scc1 .LBB11_151
; %bb.144:
	s_and_b32 s24, s66, 28
	s_mov_b32 s25, 0
	v_mov_b32_e32 v24, 0
	s_mov_b64 s[26:27], s[34:35]
	s_mov_b64 s[30:31], s[58:59]
	v_mov_b32_e32 v0, v26
	v_mov_b32_e32 v2, 0
.LBB11_145:                             ; =>This Inner Loop Header: Depth=1
	s_load_dwordx8 s[12:19], s[26:27], 0x4
	s_load_dwordx4 s[20:23], s[26:27], 0x24
	s_load_dwordx8 s[4:11], s[30:31], 0x0
	s_add_u32 s26, s26, 48
	s_addc_u32 s27, s27, 0
	s_waitcnt lgkmcnt(0)
	v_mul_hi_u32 v1, s13, v0
	v_add_u32_e32 v1, v0, v1
	v_lshrrev_b32_e32 v1, s14, v1
	v_mul_lo_u32 v3, v1, s12
	v_mul_hi_u32 v4, s16, v1
	v_sub_u32_e32 v0, v0, v3
	v_add_u32_e32 v3, v1, v4
	v_lshrrev_b32_e32 v3, s17, v3
	v_mul_lo_u32 v5, v3, s15
	v_mul_hi_u32 v6, s19, v3
	v_sub_u32_e32 v1, v1, v5
	v_add_u32_e32 v5, v3, v6
	v_mul_lo_u32 v4, v0, s5
	v_mul_lo_u32 v0, v0, s4
	;; [unrolled: 1-line block ×4, first 2 shown]
	v_lshrrev_b32_e32 v5, s20, v5
	v_add3_u32 v1, v0, v24, v1
	v_add3_u32 v2, v4, v2, v6
	v_mul_lo_u32 v0, v5, s18
	v_mul_hi_u32 v4, s22, v5
	v_sub_u32_e32 v0, v3, v0
	v_add_u32_e32 v3, v5, v4
	v_mul_lo_u32 v4, v0, s8
	v_mul_lo_u32 v6, v0, s9
	v_lshrrev_b32_e32 v0, s23, v3
	s_add_i32 s25, s25, 4
	v_mul_lo_u32 v3, v0, s21
	s_add_u32 s30, s30, 32
	v_sub_u32_e32 v3, v5, v3
	s_addc_u32 s31, s31, 0
	v_mul_lo_u32 v5, v3, s10
	v_mul_lo_u32 v3, v3, s11
	s_cmp_eq_u32 s24, s25
	v_add3_u32 v2, v6, v2, v3
	v_add3_u32 v24, v4, v1, v5
	s_cbranch_scc0 .LBB11_145
; %bb.146:
	v_mov_b32_e32 v25, v2
	s_branch .LBB11_152
.LBB11_147:
	s_or_b64 exec, exec, s[64:65]
	s_mov_b64 s[4:5], 0
	s_and_saveexec_b64 s[8:9], s[62:63]
	s_cbranch_execnz .LBB11_530
.LBB11_148:
	s_or_b64 exec, exec, s[8:9]
	s_and_saveexec_b64 s[8:9], s[68:69]
	s_xor_b64 s[8:9], exec, s[8:9]
	s_cbranch_execz .LBB11_531
.LBB11_149:
	v_cmp_neq_f64_e32 vcc, 0, v[0:1]
	v_cndmask_b32_e64 v2, 0, 1, vcc
	global_store_byte v[4:5], v2, off
	s_or_b64 exec, exec, s[8:9]
	s_and_saveexec_b64 s[8:9], s[6:7]
	s_xor_b64 s[6:7], exec, s[8:9]
	s_cbranch_execz .LBB11_569
	s_branch .LBB11_532
.LBB11_150:
                                        ; implicit-def: $vgpr2
                                        ; implicit-def: $vgpr24
	s_branch .LBB11_157
.LBB11_151:
	s_mov_b32 s25, s24
	v_pk_mov_b32 v[24:25], s[24:25], s[24:25] op_sel:[0,1]
                                        ; implicit-def: $vgpr2
	v_mov_b32_e32 v0, v26
.LBB11_152:
	s_and_b32 s8, s66, 3
	s_cmp_eq_u32 s8, 0
	s_cbranch_scc1 .LBB11_156
; %bb.153:
	s_lshl_b32 s4, s24, 3
	s_add_u32 s4, s4, s34
	s_addc_u32 s5, s35, 0
	s_add_u32 s4, s4, 0xc4
	s_addc_u32 s5, s5, 0
	s_mul_i32 s6, s24, 12
	s_add_u32 s6, s34, s6
	s_addc_u32 s7, s35, 0
.LBB11_154:                             ; =>This Inner Loop Header: Depth=1
	s_load_dwordx2 s[10:11], s[6:7], 0x4
	s_load_dword s9, s[6:7], 0xc
	s_load_dwordx2 s[12:13], s[4:5], 0x0
	s_add_u32 s6, s6, 12
	s_addc_u32 s7, s7, 0
	s_waitcnt lgkmcnt(0)
	v_mul_hi_u32 v1, s11, v0
	v_add_u32_e32 v1, v0, v1
	v_lshrrev_b32_e32 v1, s9, v1
	v_mul_lo_u32 v3, v1, s10
	v_mov_b32_e32 v2, v25
	s_add_u32 s4, s4, 8
	v_sub_u32_e32 v4, v0, v3
	s_addc_u32 s5, s5, 0
	s_add_i32 s8, s8, -1
	v_mad_u64_u32 v[2:3], s[10:11], v4, s13, v[2:3]
	v_mad_u64_u32 v[24:25], s[10:11], v4, s12, v[24:25]
	s_cmp_lg_u32 s8, 0
	v_mov_b32_e32 v0, v1
	v_mov_b32_e32 v25, v2
	s_cbranch_scc1 .LBB11_154
; %bb.155:
	v_mov_b32_e32 v2, v25
.LBB11_156:
	s_cbranch_execnz .LBB11_159
.LBB11_157:
	s_waitcnt lgkmcnt(0)
	v_mul_hi_u32 v0, s45, v26
	v_add_u32_e32 v0, v26, v0
	v_lshrrev_b32_e32 v0, s46, v0
	v_mul_lo_u32 v1, v0, s44
	v_sub_u32_e32 v1, v26, v1
	v_mul_lo_u32 v2, v1, s41
	s_andn2_b64 vcc, exec, s[56:57]
	v_mul_lo_u32 v24, v1, s40
	s_cbranch_vccnz .LBB11_159
; %bb.158:
	v_mul_hi_u32 v1, s54, v0
	v_add_u32_e32 v1, v0, v1
	v_lshrrev_b32_e32 v1, s55, v1
	v_mul_lo_u32 v1, v1, s47
	v_sub_u32_e32 v0, v0, v1
	v_mad_u64_u32 v[24:25], s[4:5], v0, s42, v[24:25]
	v_mad_u64_u32 v[2:3], s[4:5], v0, s43, v[2:3]
.LBB11_159:
	s_waitcnt lgkmcnt(0)
	v_mov_b32_e32 v0, s38
	v_mov_b32_e32 v1, s39
	v_mov_b32_e32 v3, v23
	s_getpc_b64 s[4:5]
	s_add_u32 s4, s4, _ZN2at6native6invokeIZZZNS0_12_GLOBAL__N_137scaled_modified_bessel_k0_kernel_cudaERNS_18TensorIteratorBaseEENKUlvE_clEvENKUlvE_clEvEUldE_j15function_traitsIS7_EEENT1_11result_typeERKT_PrKPcPKT0_PKN3c1010ScalarTypeEi@rel32@lo+4
	s_addc_u32 s5, s5, _ZN2at6native6invokeIZZZNS0_12_GLOBAL__N_137scaled_modified_bessel_k0_kernel_cudaERNS_18TensorIteratorBaseEENKUlvE_clEvENKUlvE_clEvEUldE_j15function_traitsIS7_EEENT1_11result_typeERKT_PrKPcPKT0_PKN3c1010ScalarTypeEi@rel32@hi+12
	s_swappc_b64 s[30:31], s[4:5]
	v_mov_b32_e32 v2, s37
	v_add_co_u32_e32 v4, vcc, s36, v24
	v_addc_co_u32_e32 v5, vcc, 0, v2, vcc
	v_mov_b32_e32 v2, 11
	v_cmp_lt_i16_sdwa s[4:5], v27, v2 src0_sel:BYTE_0 src1_sel:DWORD
	s_and_b64 vcc, exec, s[4:5]
	s_cbranch_vccnz .LBB11_166
; %bb.160:
	v_mov_b32_e32 v2, 25
	v_cmp_gt_i16_sdwa s[4:5], v27, v2 src0_sel:BYTE_0 src1_sel:DWORD
	s_and_b64 vcc, exec, s[4:5]
	s_cbranch_vccz .LBB11_169
; %bb.161:
	v_mov_b32_e32 v2, 28
	v_cmp_gt_i16_sdwa s[4:5], v27, v2 src0_sel:BYTE_0 src1_sel:DWORD
	s_and_b64 vcc, exec, s[4:5]
	s_cbranch_vccz .LBB11_170
	;; [unrolled: 5-line block ×4, first 2 shown]
; %bb.164:
	v_mov_b32_e32 v2, 46
	v_cmp_eq_u16_sdwa s[6:7], v27, v2 src0_sel:BYTE_0 src1_sel:DWORD
	s_mov_b64 s[8:9], 0
	s_mov_b64 s[4:5], -1
	s_and_b64 vcc, exec, s[6:7]
	s_mov_b64 s[6:7], 0
	s_cbranch_vccz .LBB11_177
; %bb.165:
	v_cvt_f32_f64_e32 v2, v[0:1]
	v_bfe_u32 v3, v2, 16, 1
	s_movk_i32 s4, 0x7fff
	v_add3_u32 v3, v2, v3, s4
	v_lshrrev_b32_e32 v3, 16, v3
	v_mov_b32_e32 v6, 0x7fc0
	v_cmp_o_f32_e32 vcc, v2, v2
	v_cndmask_b32_e32 v2, v6, v3, vcc
	global_store_dword v[4:5], v2, off
	s_mov_b64 s[6:7], -1
	s_mov_b64 s[4:5], 0
	s_branch .LBB11_177
.LBB11_166:
	s_mov_b64 s[6:7], 0
	s_mov_b64 s[4:5], s[62:63]
	s_cbranch_execnz .LBB11_246
.LBB11_167:
	s_andn2_b64 vcc, exec, s[6:7]
	s_cbranch_vccnz .LBB11_284
.LBB11_168:
	v_add_u32_e32 v26, 0x80, v26
	s_mov_b64 s[6:7], -1
	s_branch .LBB11_285
.LBB11_169:
	s_mov_b64 s[8:9], -1
	s_mov_b64 s[6:7], 0
	s_mov_b64 s[4:5], s[62:63]
	s_branch .LBB11_204
.LBB11_170:
	s_mov_b64 s[8:9], -1
	s_mov_b64 s[6:7], 0
	s_mov_b64 s[4:5], s[62:63]
	s_branch .LBB11_187
.LBB11_171:
	s_or_saveexec_b64 s[10:11], s[10:11]
                                        ; implicit-def: $sgpr12
	s_xor_b64 exec, exec, s[10:11]
	s_cbranch_execz .LBB11_52
.LBB11_172:
	s_mov_b32 s12, 0x46000000
	v_add_f32_e64 v3, |v2|, s12
	v_and_b32_e32 v3, 0xff, v3
	v_cmp_ne_u32_e32 vcc, 0, v3
	s_andn2_b64 s[8:9], s[8:9], exec
	s_and_b64 s[14:15], vcc, exec
	s_mov_b32 s12, 0
	s_or_b64 s[8:9], s[8:9], s[14:15]
	s_or_b64 exec, exec, s[10:11]
	v_mov_b32_e32 v6, s12
	s_and_saveexec_b64 s[10:11], s[8:9]
	s_cbranch_execnz .LBB11_53
	s_branch .LBB11_54
.LBB11_173:
	s_mov_b64 s[8:9], -1
	s_mov_b64 s[6:7], 0
	s_mov_b64 s[4:5], s[62:63]
	s_branch .LBB11_183
.LBB11_174:
	s_or_saveexec_b64 s[10:11], s[10:11]
                                        ; implicit-def: $sgpr12
	s_xor_b64 exec, exec, s[10:11]
	s_cbranch_execz .LBB11_64
.LBB11_175:
	s_mov_b32 s12, 0x42800000
	v_add_f32_e64 v3, |v2|, s12
	v_and_b32_e32 v3, 0xff, v3
	v_cmp_ne_u32_e32 vcc, 0, v3
	s_andn2_b64 s[8:9], s[8:9], exec
	s_and_b64 s[14:15], vcc, exec
	s_mov_b32 s12, 0
	s_or_b64 s[8:9], s[8:9], s[14:15]
	s_or_b64 exec, exec, s[10:11]
	v_mov_b32_e32 v6, s12
	s_and_saveexec_b64 s[10:11], s[8:9]
	s_cbranch_execnz .LBB11_65
	s_branch .LBB11_66
.LBB11_176:
	s_mov_b64 s[8:9], -1
	s_mov_b64 s[6:7], 0
	s_mov_b64 s[4:5], s[62:63]
.LBB11_177:
	s_and_b64 vcc, exec, s[8:9]
	s_cbranch_vccz .LBB11_182
; %bb.178:
	v_mov_b32_e32 v2, 44
	v_cmp_eq_u16_sdwa s[8:9], v27, v2 src0_sel:BYTE_0 src1_sel:DWORD
	s_mov_b64 s[4:5], -1
	s_and_b64 vcc, exec, s[8:9]
	s_cbranch_vccz .LBB11_182
; %bb.179:
	v_cvt_f32_f64_e32 v2, v[0:1]
	v_bfe_u32 v3, v2, 23, 8
	s_movk_i32 s4, 0xff
	v_cmp_ne_u32_e32 vcc, s4, v3
	v_mov_b32_e32 v6, 0xff
	s_and_saveexec_b64 s[6:7], vcc
; %bb.180:
	s_mov_b32 s4, 0x3fffff
	v_lshrrev_b32_e32 v6, 23, v2
	v_and_b32_e32 v7, 0x400000, v2
	v_and_or_b32 v2, v2, s4, v3
	v_cmp_ne_u32_e32 vcc, 0, v7
	v_cmp_ne_u32_e64 s[4:5], 0, v2
	s_and_b64 s[4:5], vcc, s[4:5]
	v_cndmask_b32_e64 v2, 0, 1, s[4:5]
	v_add_u32_e32 v6, v6, v2
; %bb.181:
	s_or_b64 exec, exec, s[6:7]
	s_mov_b64 s[6:7], -1
	s_mov_b64 s[4:5], 0
	global_store_byte v[4:5], v6, off
.LBB11_182:
	s_mov_b64 s[8:9], 0
.LBB11_183:
	s_and_b64 vcc, exec, s[8:9]
	s_cbranch_vccz .LBB11_186
; %bb.184:
	v_mov_b32_e32 v2, 29
	v_cmp_eq_u16_sdwa s[8:9], v27, v2 src0_sel:BYTE_0 src1_sel:DWORD
	s_mov_b64 s[4:5], -1
	s_and_b64 vcc, exec, s[8:9]
	s_cbranch_vccz .LBB11_186
; %bb.185:
	v_trunc_f64_e32 v[2:3], v[0:1]
	s_movk_i32 s4, 0xffe0
	v_ldexp_f64 v[6:7], v[2:3], s4
	v_floor_f64_e32 v[6:7], v[6:7]
	v_fmac_f64_e32 v[2:3], 0xc1f00000, v[6:7]
	v_cvt_u32_f64_e32 v9, v[6:7]
	v_cvt_u32_f64_e32 v8, v[2:3]
	global_store_dwordx2 v[4:5], v[8:9], off
	s_mov_b64 s[6:7], -1
	s_mov_b64 s[4:5], 0
.LBB11_186:
	s_mov_b64 s[8:9], 0
.LBB11_187:
	s_and_b64 vcc, exec, s[8:9]
	s_cbranch_vccz .LBB11_203
; %bb.188:
	v_mov_b32_e32 v2, 27
	v_cmp_lt_i16_sdwa s[8:9], v27, v2 src0_sel:BYTE_0 src1_sel:DWORD
	s_mov_b64 s[6:7], -1
	s_and_b64 vcc, exec, s[8:9]
	s_cbranch_vccnz .LBB11_194
; %bb.189:
	v_cmp_gt_i16_sdwa s[8:9], v27, v2 src0_sel:BYTE_0 src1_sel:DWORD
	s_and_b64 vcc, exec, s[8:9]
	v_cvt_u32_f64_e32 v2, v[0:1]
	s_cbranch_vccz .LBB11_191
; %bb.190:
	s_mov_b64 s[6:7], 0
	global_store_dword v[4:5], v2, off
.LBB11_191:
	s_andn2_b64 vcc, exec, s[6:7]
	s_cbranch_vccnz .LBB11_193
; %bb.192:
	global_store_short v[4:5], v2, off
.LBB11_193:
	s_mov_b64 s[6:7], 0
.LBB11_194:
	s_andn2_b64 vcc, exec, s[6:7]
	s_cbranch_vccnz .LBB11_202
; %bb.195:
	v_cvt_f32_f64_e32 v2, v[0:1]
	v_and_b32_e32 v3, 0x7fffffff, v2
	s_mov_b32 s6, 0x43800000
	v_cmp_gt_u32_e32 vcc, s6, v3
	v_mov_b32_e32 v6, 0x80
	s_and_saveexec_b64 s[6:7], vcc
	s_cbranch_execz .LBB11_201
; %bb.196:
	s_mov_b32 s8, 0x3bffffff
	v_cmp_lt_u32_e32 vcc, s8, v3
	s_mov_b64 s[8:9], 0
                                        ; implicit-def: $vgpr3
	s_and_saveexec_b64 s[10:11], vcc
	s_xor_b64 s[10:11], exec, s[10:11]
	s_cbranch_execz .LBB11_314
; %bb.197:
	v_bfe_u32 v3, v2, 20, 1
	s_mov_b32 s12, 0x487ffff
	v_add3_u32 v3, v2, v3, s12
	s_mov_b64 s[8:9], exec
	v_lshrrev_b32_e32 v3, 20, v3
	s_or_saveexec_b64 s[10:11], s[10:11]
                                        ; implicit-def: $sgpr12
	s_xor_b64 exec, exec, s[10:11]
	s_cbranch_execnz .LBB11_315
.LBB11_198:
	s_or_b64 exec, exec, s[10:11]
	v_mov_b32_e32 v6, s12
	s_and_saveexec_b64 s[10:11], s[8:9]
.LBB11_199:
	v_lshrrev_b32_e32 v2, 24, v2
	s_movk_i32 s8, 0x80
	v_and_or_b32 v6, v2, s8, v3
.LBB11_200:
	s_or_b64 exec, exec, s[10:11]
.LBB11_201:
	s_or_b64 exec, exec, s[6:7]
	global_store_byte v[4:5], v6, off
.LBB11_202:
	s_mov_b64 s[6:7], -1
.LBB11_203:
	s_mov_b64 s[8:9], 0
.LBB11_204:
	s_and_b64 vcc, exec, s[8:9]
	s_cbranch_vccz .LBB11_245
; %bb.205:
	v_mov_b32_e32 v2, 22
	v_cmp_gt_i16_sdwa s[10:11], v27, v2 src0_sel:BYTE_0 src1_sel:DWORD
	s_mov_b64 s[8:9], -1
	s_and_b64 vcc, exec, s[10:11]
	s_cbranch_vccz .LBB11_237
; %bb.206:
	v_mov_b32_e32 v2, 24
	v_cmp_lt_i16_sdwa s[8:9], v27, v2 src0_sel:BYTE_0 src1_sel:DWORD
	s_mov_b64 s[6:7], -1
	s_and_b64 vcc, exec, s[8:9]
	s_cbranch_vccnz .LBB11_226
; %bb.207:
	v_cmp_gt_i16_sdwa s[8:9], v27, v2 src0_sel:BYTE_0 src1_sel:DWORD
	s_and_b64 vcc, exec, s[8:9]
	s_cbranch_vccz .LBB11_215
; %bb.208:
	v_cvt_f32_f64_e32 v2, v[0:1]
	v_and_b32_e32 v3, 0x7fffffff, v2
	s_mov_b32 s6, 0x47800000
	v_cmp_gt_u32_e32 vcc, s6, v3
	v_mov_b32_e32 v6, 0x80
	s_and_saveexec_b64 s[6:7], vcc
	s_cbranch_execz .LBB11_214
; %bb.209:
	s_mov_b32 s8, 0x37ffffff
	v_cmp_lt_u32_e32 vcc, s8, v3
	s_mov_b64 s[8:9], 0
                                        ; implicit-def: $vgpr3
	s_and_saveexec_b64 s[10:11], vcc
	s_xor_b64 s[10:11], exec, s[10:11]
	s_cbranch_execz .LBB11_317
; %bb.210:
	v_bfe_u32 v3, v2, 21, 1
	s_mov_b32 s12, 0x88fffff
	v_add3_u32 v3, v2, v3, s12
	s_mov_b64 s[8:9], exec
	v_lshrrev_b32_e32 v3, 21, v3
	s_or_saveexec_b64 s[10:11], s[10:11]
                                        ; implicit-def: $sgpr12
	s_xor_b64 exec, exec, s[10:11]
	s_cbranch_execnz .LBB11_318
.LBB11_211:
	s_or_b64 exec, exec, s[10:11]
	v_mov_b32_e32 v6, s12
	s_and_saveexec_b64 s[10:11], s[8:9]
.LBB11_212:
	v_lshrrev_b32_e32 v2, 24, v2
	s_movk_i32 s8, 0x80
	v_and_or_b32 v6, v2, s8, v3
.LBB11_213:
	s_or_b64 exec, exec, s[10:11]
.LBB11_214:
	s_or_b64 exec, exec, s[6:7]
	s_mov_b64 s[6:7], 0
	global_store_byte v[4:5], v6, off
.LBB11_215:
	s_and_b64 vcc, exec, s[6:7]
	s_cbranch_vccz .LBB11_225
; %bb.216:
	v_cvt_f32_f64_e32 v2, v[0:1]
	v_and_b32_e32 v6, 0x7fffffff, v2
	s_mov_b32 s6, 0x43f00000
	v_cmp_gt_u32_e32 vcc, s6, v6
                                        ; implicit-def: $vgpr3
	s_and_saveexec_b64 s[6:7], vcc
	s_xor_b64 s[6:7], exec, s[6:7]
	s_cbranch_execz .LBB11_222
; %bb.217:
	s_mov_b32 s8, 0x3c7fffff
	v_cmp_lt_u32_e32 vcc, s8, v6
                                        ; implicit-def: $vgpr3
	s_and_saveexec_b64 s[8:9], vcc
	s_xor_b64 s[8:9], exec, s[8:9]
; %bb.218:
	v_bfe_u32 v3, v2, 20, 1
	s_mov_b32 s10, 0x407ffff
	v_add3_u32 v3, v2, v3, s10
	v_lshrrev_b32_e32 v6, 20, v3
	v_and_b32_e32 v3, 0xff00000, v3
	s_mov_b32 s10, 0x7f00000
	v_mov_b32_e32 v7, 0x7e
	v_cmp_ne_u32_e32 vcc, s10, v3
	v_cndmask_b32_e32 v3, v7, v6, vcc
; %bb.219:
	s_andn2_saveexec_b64 s[8:9], s[8:9]
; %bb.220:
	s_mov_b32 s10, 0x46800000
	v_add_f32_e64 v3, |v2|, s10
; %bb.221:
	s_or_b64 exec, exec, s[8:9]
                                        ; implicit-def: $vgpr6
.LBB11_222:
	s_andn2_saveexec_b64 s[6:7], s[6:7]
; %bb.223:
	s_mov_b32 s8, 0x7f800000
	v_mov_b32_e32 v3, 0x7e
	v_mov_b32_e32 v7, 0x7f
	v_cmp_lt_u32_e32 vcc, s8, v6
	v_cndmask_b32_e32 v3, v3, v7, vcc
; %bb.224:
	s_or_b64 exec, exec, s[6:7]
	v_lshrrev_b32_e32 v2, 24, v2
	s_movk_i32 s6, 0x80
	v_and_or_b32 v2, v2, s6, v3
	global_store_byte v[4:5], v2, off
.LBB11_225:
	s_mov_b64 s[6:7], 0
.LBB11_226:
	s_andn2_b64 vcc, exec, s[6:7]
	s_cbranch_vccnz .LBB11_236
; %bb.227:
	v_cvt_f32_f64_e32 v2, v[0:1]
	v_and_b32_e32 v6, 0x7fffffff, v2
	s_mov_b32 s6, 0x47800000
	v_cmp_gt_u32_e32 vcc, s6, v6
                                        ; implicit-def: $vgpr3
	s_and_saveexec_b64 s[6:7], vcc
	s_xor_b64 s[6:7], exec, s[6:7]
	s_cbranch_execz .LBB11_233
; %bb.228:
	s_mov_b32 s8, 0x387fffff
	v_cmp_lt_u32_e32 vcc, s8, v6
                                        ; implicit-def: $vgpr3
	s_and_saveexec_b64 s[8:9], vcc
	s_xor_b64 s[8:9], exec, s[8:9]
; %bb.229:
	v_bfe_u32 v3, v2, 21, 1
	s_mov_b32 s10, 0x80fffff
	v_add3_u32 v3, v2, v3, s10
	v_lshrrev_b32_e32 v3, 21, v3
; %bb.230:
	s_andn2_saveexec_b64 s[8:9], s[8:9]
; %bb.231:
	s_mov_b32 s10, 0x43000000
	v_add_f32_e64 v3, |v2|, s10
; %bb.232:
	s_or_b64 exec, exec, s[8:9]
                                        ; implicit-def: $vgpr6
.LBB11_233:
	s_andn2_saveexec_b64 s[6:7], s[6:7]
; %bb.234:
	s_mov_b32 s8, 0x7f800000
	v_mov_b32_e32 v3, 0x7c
	v_mov_b32_e32 v7, 0x7f
	v_cmp_lt_u32_e32 vcc, s8, v6
	v_cndmask_b32_e32 v3, v3, v7, vcc
; %bb.235:
	s_or_b64 exec, exec, s[6:7]
	v_lshrrev_b32_e32 v2, 24, v2
	s_movk_i32 s6, 0x80
	v_and_or_b32 v2, v2, s6, v3
	global_store_byte v[4:5], v2, off
.LBB11_236:
	s_mov_b64 s[8:9], 0
	s_mov_b64 s[6:7], -1
.LBB11_237:
	s_andn2_b64 vcc, exec, s[8:9]
	s_cbranch_vccnz .LBB11_245
; %bb.238:
	v_mov_b32_e32 v2, 14
	v_cmp_gt_i16_sdwa s[10:11], v27, v2 src0_sel:BYTE_0 src1_sel:DWORD
	s_mov_b64 s[8:9], -1
	s_and_b64 vcc, exec, s[10:11]
	s_cbranch_vccz .LBB11_242
; %bb.239:
	v_mov_b32_e32 v2, 15
	v_cmp_eq_u16_sdwa s[8:9], v27, v2 src0_sel:BYTE_0 src1_sel:DWORD
	s_mov_b64 s[4:5], -1
	s_and_b64 vcc, exec, s[8:9]
	s_cbranch_vccz .LBB11_241
; %bb.240:
	v_cvt_f32_f64_e32 v2, v[0:1]
	v_bfe_u32 v3, v2, 16, 1
	s_movk_i32 s4, 0x7fff
	v_add3_u32 v3, v2, v3, s4
	v_lshrrev_b32_e32 v3, 16, v3
	v_mov_b32_e32 v6, 0x7fc0
	v_cmp_o_f32_e32 vcc, v2, v2
	v_cndmask_b32_e32 v2, v6, v3, vcc
	global_store_short v[4:5], v2, off
	s_mov_b64 s[6:7], -1
	s_mov_b64 s[4:5], 0
.LBB11_241:
	s_mov_b64 s[8:9], 0
.LBB11_242:
	s_and_b64 vcc, exec, s[8:9]
	s_cbranch_vccz .LBB11_245
; %bb.243:
	v_mov_b32_e32 v2, 11
	v_cmp_eq_u16_sdwa s[8:9], v27, v2 src0_sel:BYTE_0 src1_sel:DWORD
	s_mov_b64 s[4:5], -1
	s_and_b64 vcc, exec, s[8:9]
	s_cbranch_vccz .LBB11_245
; %bb.244:
	v_cmp_neq_f64_e32 vcc, 0, v[0:1]
	s_mov_b64 s[4:5], 0
	v_cndmask_b32_e64 v2, 0, 1, vcc
	s_mov_b64 s[6:7], -1
	global_store_byte v[4:5], v2, off
.LBB11_245:
	s_branch .LBB11_167
.LBB11_246:
	v_mov_b32_e32 v2, 5
	v_cmp_lt_i16_sdwa s[8:9], v27, v2 src0_sel:BYTE_0 src1_sel:DWORD
	s_mov_b64 s[6:7], -1
	s_and_b64 vcc, exec, s[8:9]
	s_cbranch_vccnz .LBB11_267
; %bb.247:
	v_mov_b32_e32 v2, 8
	v_cmp_lt_i16_sdwa s[8:9], v27, v2 src0_sel:BYTE_0 src1_sel:DWORD
	s_and_b64 vcc, exec, s[8:9]
	s_cbranch_vccnz .LBB11_257
; %bb.248:
	v_mov_b32_e32 v2, 9
	v_cmp_lt_i16_sdwa s[8:9], v27, v2 src0_sel:BYTE_0 src1_sel:DWORD
	s_and_b64 vcc, exec, s[8:9]
	s_cbranch_vccnz .LBB11_254
; %bb.249:
	v_cmp_gt_i16_sdwa s[8:9], v27, v2 src0_sel:BYTE_0 src1_sel:DWORD
	s_and_b64 vcc, exec, s[8:9]
	s_cbranch_vccz .LBB11_251
; %bb.250:
	v_mov_b32_e32 v2, 0
	v_mov_b32_e32 v3, v2
	s_mov_b64 s[6:7], 0
	global_store_dwordx4 v[4:5], v[0:3], off
.LBB11_251:
	s_andn2_b64 vcc, exec, s[6:7]
	s_cbranch_vccnz .LBB11_253
; %bb.252:
	v_cvt_f32_f64_e32 v2, v[0:1]
	v_mov_b32_e32 v3, 0
	global_store_dwordx2 v[4:5], v[2:3], off
.LBB11_253:
	s_mov_b64 s[6:7], 0
.LBB11_254:
	s_andn2_b64 vcc, exec, s[6:7]
	s_cbranch_vccnz .LBB11_256
; %bb.255:
	v_cvt_f32_f64_e32 v2, v[0:1]
	v_cvt_f16_f32_e32 v2, v2
	global_store_dword v[4:5], v2, off
.LBB11_256:
	s_mov_b64 s[6:7], 0
.LBB11_257:
	s_andn2_b64 vcc, exec, s[6:7]
	s_cbranch_vccnz .LBB11_266
; %bb.258:
	v_mov_b32_e32 v2, 6
	v_cmp_lt_i16_sdwa s[8:9], v27, v2 src0_sel:BYTE_0 src1_sel:DWORD
	s_mov_b64 s[6:7], -1
	s_and_b64 vcc, exec, s[8:9]
	s_cbranch_vccnz .LBB11_264
; %bb.259:
	v_cmp_gt_i16_sdwa s[8:9], v27, v2 src0_sel:BYTE_0 src1_sel:DWORD
	s_and_b64 vcc, exec, s[8:9]
	s_cbranch_vccz .LBB11_261
; %bb.260:
	s_mov_b64 s[6:7], 0
	global_store_dwordx2 v[4:5], v[0:1], off
.LBB11_261:
	s_andn2_b64 vcc, exec, s[6:7]
	s_cbranch_vccnz .LBB11_263
; %bb.262:
	v_cvt_f32_f64_e32 v2, v[0:1]
	global_store_dword v[4:5], v2, off
.LBB11_263:
	s_mov_b64 s[6:7], 0
.LBB11_264:
	s_andn2_b64 vcc, exec, s[6:7]
	s_cbranch_vccnz .LBB11_266
; %bb.265:
	v_cvt_f32_f64_e32 v2, v[0:1]
	v_cvt_f16_f32_e32 v2, v2
	global_store_short v[4:5], v2, off
.LBB11_266:
	s_mov_b64 s[6:7], 0
.LBB11_267:
	s_andn2_b64 vcc, exec, s[6:7]
	s_cbranch_vccnz .LBB11_283
; %bb.268:
	v_mov_b32_e32 v2, 2
	v_cmp_lt_i16_sdwa s[8:9], v27, v2 src0_sel:BYTE_0 src1_sel:DWORD
	s_mov_b64 s[6:7], -1
	s_and_b64 vcc, exec, s[8:9]
	s_cbranch_vccnz .LBB11_278
; %bb.269:
	v_mov_b32_e32 v2, 3
	v_cmp_lt_i16_sdwa s[8:9], v27, v2 src0_sel:BYTE_0 src1_sel:DWORD
	s_and_b64 vcc, exec, s[8:9]
	s_cbranch_vccnz .LBB11_275
; %bb.270:
	v_cmp_gt_i16_sdwa s[8:9], v27, v2 src0_sel:BYTE_0 src1_sel:DWORD
	s_and_b64 vcc, exec, s[8:9]
	s_cbranch_vccz .LBB11_272
; %bb.271:
	v_trunc_f64_e32 v[2:3], v[0:1]
	s_movk_i32 s6, 0xffe0
	v_ldexp_f64 v[6:7], v[2:3], s6
	v_floor_f64_e32 v[6:7], v[6:7]
	v_fmac_f64_e32 v[2:3], 0xc1f00000, v[6:7]
	v_cvt_i32_f64_e32 v9, v[6:7]
	v_cvt_u32_f64_e32 v8, v[2:3]
	s_mov_b64 s[6:7], 0
	global_store_dwordx2 v[4:5], v[8:9], off
.LBB11_272:
	s_andn2_b64 vcc, exec, s[6:7]
	s_cbranch_vccnz .LBB11_274
; %bb.273:
	v_cvt_i32_f64_e32 v2, v[0:1]
	global_store_dword v[4:5], v2, off
.LBB11_274:
	s_mov_b64 s[6:7], 0
.LBB11_275:
	s_andn2_b64 vcc, exec, s[6:7]
	s_cbranch_vccnz .LBB11_277
; %bb.276:
	v_cvt_i32_f64_e32 v2, v[0:1]
	global_store_short v[4:5], v2, off
.LBB11_277:
	s_mov_b64 s[6:7], 0
.LBB11_278:
	s_andn2_b64 vcc, exec, s[6:7]
	s_cbranch_vccnz .LBB11_283
; %bb.279:
	v_mov_b32_e32 v2, 0
	v_cmp_gt_i16_sdwa s[8:9], v27, v2 src0_sel:BYTE_0 src1_sel:DWORD
	s_mov_b64 s[6:7], -1
	s_and_b64 vcc, exec, s[8:9]
	s_cbranch_vccz .LBB11_281
; %bb.280:
	v_cvt_i32_f64_e32 v2, v[0:1]
	s_mov_b64 s[6:7], 0
	global_store_byte v[4:5], v2, off
.LBB11_281:
	s_andn2_b64 vcc, exec, s[6:7]
	s_cbranch_vccnz .LBB11_283
; %bb.282:
	v_trunc_f64_e32 v[0:1], v[0:1]
	s_movk_i32 s6, 0xffe0
	v_ldexp_f64 v[2:3], v[0:1], s6
	v_floor_f64_e32 v[2:3], v[2:3]
	v_fmac_f64_e32 v[0:1], 0xc1f00000, v[2:3]
	v_cvt_u32_f64_e32 v0, v[0:1]
	global_store_byte v[4:5], v0, off
.LBB11_283:
	s_branch .LBB11_168
.LBB11_284:
	s_mov_b64 s[6:7], 0
                                        ; implicit-def: $vgpr26
.LBB11_285:
	s_andn2_b64 s[8:9], s[62:63], exec
	s_and_b64 s[4:5], s[4:5], exec
	s_or_b64 s[66:67], s[8:9], s[4:5]
	s_orn2_b64 s[8:9], s[6:7], exec
.LBB11_286:
	s_or_b64 exec, exec, s[68:69]
	s_mov_b64 s[4:5], 0
	s_mov_b64 s[6:7], 0
                                        ; implicit-def: $vgpr6
                                        ; implicit-def: $vgpr4_vgpr5
                                        ; implicit-def: $vgpr0_vgpr1
	s_and_saveexec_b64 s[68:69], s[8:9]
	s_cbranch_execz .LBB11_529
; %bb.287:
	v_cmp_gt_i32_e32 vcc, s74, v26
	s_mov_b64 s[6:7], -1
	s_mov_b64 s[72:73], s[66:67]
	s_and_saveexec_b64 s[70:71], vcc
	s_cbranch_execz .LBB11_432
; %bb.288:
	s_andn2_b64 vcc, exec, s[50:51]
	s_cbranch_vccnz .LBB11_294
; %bb.289:
	s_mov_b32 s24, 0
	s_andn2_b64 vcc, exec, s[60:61]
	v_mov_b32_e32 v2, 0
	v_mov_b32_e32 v24, 0
	s_cbranch_vccnz .LBB11_300
; %bb.290:
	s_add_i32 s72, s77, 1
	s_cmp_eq_u32 s76, 2
	s_cbranch_scc1 .LBB11_295
; %bb.291:
	s_and_b32 s24, s72, 28
	s_mov_b32 s25, 0
	v_mov_b32_e32 v24, 0
	s_mov_b64 s[26:27], s[34:35]
	s_mov_b64 s[30:31], s[58:59]
	v_mov_b32_e32 v0, v26
	v_mov_b32_e32 v2, 0
.LBB11_292:                             ; =>This Inner Loop Header: Depth=1
	s_load_dwordx8 s[12:19], s[26:27], 0x4
	s_load_dwordx4 s[20:23], s[26:27], 0x24
	s_load_dwordx8 s[4:11], s[30:31], 0x0
	s_add_u32 s26, s26, 48
	s_addc_u32 s27, s27, 0
	s_waitcnt lgkmcnt(0)
	v_mul_hi_u32 v1, s13, v0
	v_add_u32_e32 v1, v0, v1
	v_lshrrev_b32_e32 v1, s14, v1
	v_mul_lo_u32 v3, v1, s12
	v_mul_hi_u32 v4, s16, v1
	v_sub_u32_e32 v0, v0, v3
	v_add_u32_e32 v3, v1, v4
	v_lshrrev_b32_e32 v3, s17, v3
	v_mul_lo_u32 v5, v3, s15
	v_mul_hi_u32 v6, s19, v3
	v_sub_u32_e32 v1, v1, v5
	v_add_u32_e32 v5, v3, v6
	v_mul_lo_u32 v4, v0, s5
	v_mul_lo_u32 v0, v0, s4
	;; [unrolled: 1-line block ×4, first 2 shown]
	v_lshrrev_b32_e32 v5, s20, v5
	v_add3_u32 v1, v0, v24, v1
	v_add3_u32 v2, v4, v2, v6
	v_mul_lo_u32 v0, v5, s18
	v_mul_hi_u32 v4, s22, v5
	v_sub_u32_e32 v0, v3, v0
	v_add_u32_e32 v3, v5, v4
	v_mul_lo_u32 v4, v0, s8
	v_mul_lo_u32 v6, v0, s9
	v_lshrrev_b32_e32 v0, s23, v3
	s_add_i32 s25, s25, 4
	v_mul_lo_u32 v3, v0, s21
	s_add_u32 s30, s30, 32
	v_sub_u32_e32 v3, v5, v3
	s_addc_u32 s31, s31, 0
	v_mul_lo_u32 v5, v3, s10
	v_mul_lo_u32 v3, v3, s11
	s_cmp_eq_u32 s24, s25
	v_add3_u32 v2, v6, v2, v3
	v_add3_u32 v24, v4, v1, v5
	s_cbranch_scc0 .LBB11_292
; %bb.293:
	v_mov_b32_e32 v25, v2
	s_branch .LBB11_296
.LBB11_294:
	s_mov_b64 s[4:5], -1
                                        ; implicit-def: $vgpr2
                                        ; implicit-def: $vgpr24
	s_branch .LBB11_301
.LBB11_295:
	s_mov_b32 s25, s24
	v_pk_mov_b32 v[24:25], s[24:25], s[24:25] op_sel:[0,1]
                                        ; implicit-def: $vgpr2
	v_mov_b32_e32 v0, v26
.LBB11_296:
	s_and_b32 s8, s72, 3
	s_cmp_eq_u32 s8, 0
	s_cbranch_scc1 .LBB11_300
; %bb.297:
	s_lshl_b32 s4, s24, 3
	s_add_u32 s4, s4, s34
	s_addc_u32 s5, s35, 0
	s_add_u32 s4, s4, 0xc4
	s_addc_u32 s5, s5, 0
	s_mul_i32 s6, s24, 12
	s_add_u32 s6, s34, s6
	s_addc_u32 s7, s35, 0
.LBB11_298:                             ; =>This Inner Loop Header: Depth=1
	s_load_dwordx2 s[10:11], s[6:7], 0x4
	s_load_dword s9, s[6:7], 0xc
	s_load_dwordx2 s[12:13], s[4:5], 0x0
	s_add_u32 s6, s6, 12
	s_addc_u32 s7, s7, 0
	s_waitcnt lgkmcnt(0)
	v_mul_hi_u32 v1, s11, v0
	v_add_u32_e32 v1, v0, v1
	v_lshrrev_b32_e32 v1, s9, v1
	v_mul_lo_u32 v3, v1, s10
	v_mov_b32_e32 v2, v25
	s_add_u32 s4, s4, 8
	v_sub_u32_e32 v4, v0, v3
	s_addc_u32 s5, s5, 0
	s_add_i32 s8, s8, -1
	v_mad_u64_u32 v[2:3], s[10:11], v4, s13, v[2:3]
	v_mad_u64_u32 v[24:25], s[10:11], v4, s12, v[24:25]
	s_cmp_lg_u32 s8, 0
	v_mov_b32_e32 v0, v1
	v_mov_b32_e32 v25, v2
	s_cbranch_scc1 .LBB11_298
; %bb.299:
	v_mov_b32_e32 v2, v25
.LBB11_300:
	s_mov_b64 s[4:5], 0
.LBB11_301:
	s_andn2_b64 vcc, exec, s[4:5]
	s_cbranch_vccnz .LBB11_304
; %bb.302:
	s_waitcnt lgkmcnt(0)
	v_mul_hi_u32 v0, s45, v26
	v_add_u32_e32 v0, v26, v0
	v_lshrrev_b32_e32 v0, s46, v0
	v_mul_lo_u32 v1, v0, s44
	v_sub_u32_e32 v1, v26, v1
	v_mul_lo_u32 v2, v1, s41
	s_andn2_b64 vcc, exec, s[56:57]
	v_mul_lo_u32 v24, v1, s40
	s_cbranch_vccnz .LBB11_304
; %bb.303:
	v_mul_hi_u32 v1, s54, v0
	v_add_u32_e32 v1, v0, v1
	v_lshrrev_b32_e32 v1, s55, v1
	v_mul_lo_u32 v1, v1, s47
	v_sub_u32_e32 v0, v0, v1
	v_mad_u64_u32 v[24:25], s[4:5], v0, s42, v[24:25]
	v_mad_u64_u32 v[2:3], s[4:5], v0, s43, v[2:3]
.LBB11_304:
	s_waitcnt lgkmcnt(0)
	v_mov_b32_e32 v0, s38
	v_mov_b32_e32 v1, s39
	;; [unrolled: 1-line block ×3, first 2 shown]
	s_getpc_b64 s[4:5]
	s_add_u32 s4, s4, _ZN2at6native6invokeIZZZNS0_12_GLOBAL__N_137scaled_modified_bessel_k0_kernel_cudaERNS_18TensorIteratorBaseEENKUlvE_clEvENKUlvE_clEvEUldE_j15function_traitsIS7_EEENT1_11result_typeERKT_PrKPcPKT0_PKN3c1010ScalarTypeEi@rel32@lo+4
	s_addc_u32 s5, s5, _ZN2at6native6invokeIZZZNS0_12_GLOBAL__N_137scaled_modified_bessel_k0_kernel_cudaERNS_18TensorIteratorBaseEENKUlvE_clEvENKUlvE_clEvEUldE_j15function_traitsIS7_EEENT1_11result_typeERKT_PrKPcPKT0_PKN3c1010ScalarTypeEi@rel32@hi+12
	s_swappc_b64 s[30:31], s[4:5]
	v_mov_b32_e32 v2, s37
	v_add_co_u32_e32 v4, vcc, s36, v24
	v_addc_co_u32_e32 v5, vcc, 0, v2, vcc
	v_mov_b32_e32 v2, 11
	v_cmp_lt_i16_sdwa s[4:5], v27, v2 src0_sel:BYTE_0 src1_sel:DWORD
	s_and_b64 vcc, exec, s[4:5]
	s_cbranch_vccnz .LBB11_311
; %bb.305:
	v_mov_b32_e32 v2, 25
	v_cmp_gt_i16_sdwa s[4:5], v27, v2 src0_sel:BYTE_0 src1_sel:DWORD
	s_and_b64 vcc, exec, s[4:5]
	s_cbranch_vccz .LBB11_312
; %bb.306:
	v_mov_b32_e32 v2, 28
	v_cmp_gt_i16_sdwa s[4:5], v27, v2 src0_sel:BYTE_0 src1_sel:DWORD
	s_and_b64 vcc, exec, s[4:5]
	s_cbranch_vccz .LBB11_313
	;; [unrolled: 5-line block ×4, first 2 shown]
; %bb.309:
	v_mov_b32_e32 v2, 46
	v_cmp_eq_u16_sdwa s[6:7], v27, v2 src0_sel:BYTE_0 src1_sel:DWORD
	s_mov_b64 s[8:9], 0
	s_mov_b64 s[4:5], -1
	s_and_b64 vcc, exec, s[6:7]
	s_mov_b64 s[6:7], 0
	s_cbranch_vccz .LBB11_320
; %bb.310:
	v_cvt_f32_f64_e32 v2, v[0:1]
	v_bfe_u32 v3, v2, 16, 1
	s_movk_i32 s4, 0x7fff
	v_add3_u32 v3, v2, v3, s4
	v_lshrrev_b32_e32 v3, 16, v3
	v_mov_b32_e32 v6, 0x7fc0
	v_cmp_o_f32_e32 vcc, v2, v2
	v_cndmask_b32_e32 v2, v6, v3, vcc
	global_store_dword v[4:5], v2, off
	s_mov_b64 s[6:7], -1
	s_mov_b64 s[4:5], 0
	s_branch .LBB11_320
.LBB11_311:
	s_mov_b64 s[8:9], -1
	s_mov_b64 s[6:7], 0
	s_mov_b64 s[4:5], s[66:67]
	s_branch .LBB11_389
.LBB11_312:
	s_mov_b64 s[8:9], -1
	s_mov_b64 s[6:7], 0
	s_mov_b64 s[4:5], s[66:67]
	s_branch .LBB11_347
.LBB11_313:
	s_mov_b64 s[8:9], -1
	s_mov_b64 s[6:7], 0
	s_mov_b64 s[4:5], s[66:67]
	s_branch .LBB11_330
.LBB11_314:
	s_or_saveexec_b64 s[10:11], s[10:11]
                                        ; implicit-def: $sgpr12
	s_xor_b64 exec, exec, s[10:11]
	s_cbranch_execz .LBB11_198
.LBB11_315:
	s_mov_b32 s12, 0x46000000
	v_add_f32_e64 v3, |v2|, s12
	v_and_b32_e32 v3, 0xff, v3
	v_cmp_ne_u32_e32 vcc, 0, v3
	s_andn2_b64 s[8:9], s[8:9], exec
	s_and_b64 s[14:15], vcc, exec
	s_mov_b32 s12, 0
	s_or_b64 s[8:9], s[8:9], s[14:15]
	s_or_b64 exec, exec, s[10:11]
	v_mov_b32_e32 v6, s12
	s_and_saveexec_b64 s[10:11], s[8:9]
	s_cbranch_execnz .LBB11_199
	s_branch .LBB11_200
.LBB11_316:
	s_mov_b64 s[8:9], -1
	s_mov_b64 s[6:7], 0
	s_mov_b64 s[4:5], s[66:67]
	s_branch .LBB11_326
.LBB11_317:
	s_or_saveexec_b64 s[10:11], s[10:11]
                                        ; implicit-def: $sgpr12
	s_xor_b64 exec, exec, s[10:11]
	s_cbranch_execz .LBB11_211
.LBB11_318:
	s_mov_b32 s12, 0x42800000
	v_add_f32_e64 v3, |v2|, s12
	v_and_b32_e32 v3, 0xff, v3
	v_cmp_ne_u32_e32 vcc, 0, v3
	s_andn2_b64 s[8:9], s[8:9], exec
	s_and_b64 s[14:15], vcc, exec
	s_mov_b32 s12, 0
	s_or_b64 s[8:9], s[8:9], s[14:15]
	s_or_b64 exec, exec, s[10:11]
	v_mov_b32_e32 v6, s12
	s_and_saveexec_b64 s[10:11], s[8:9]
	s_cbranch_execnz .LBB11_212
	s_branch .LBB11_213
.LBB11_319:
	s_mov_b64 s[8:9], -1
	s_mov_b64 s[6:7], 0
	s_mov_b64 s[4:5], s[66:67]
.LBB11_320:
	s_and_b64 vcc, exec, s[8:9]
	s_cbranch_vccz .LBB11_325
; %bb.321:
	v_mov_b32_e32 v2, 44
	v_cmp_eq_u16_sdwa s[8:9], v27, v2 src0_sel:BYTE_0 src1_sel:DWORD
	s_mov_b64 s[4:5], -1
	s_and_b64 vcc, exec, s[8:9]
	s_cbranch_vccz .LBB11_325
; %bb.322:
	v_cvt_f32_f64_e32 v2, v[0:1]
	v_bfe_u32 v3, v2, 23, 8
	s_movk_i32 s4, 0xff
	v_cmp_ne_u32_e32 vcc, s4, v3
	v_mov_b32_e32 v6, 0xff
	s_and_saveexec_b64 s[6:7], vcc
; %bb.323:
	s_mov_b32 s4, 0x3fffff
	v_lshrrev_b32_e32 v6, 23, v2
	v_and_b32_e32 v7, 0x400000, v2
	v_and_or_b32 v2, v2, s4, v3
	v_cmp_ne_u32_e32 vcc, 0, v7
	v_cmp_ne_u32_e64 s[4:5], 0, v2
	s_and_b64 s[4:5], vcc, s[4:5]
	v_cndmask_b32_e64 v2, 0, 1, s[4:5]
	v_add_u32_e32 v6, v6, v2
; %bb.324:
	s_or_b64 exec, exec, s[6:7]
	s_mov_b64 s[6:7], -1
	s_mov_b64 s[4:5], 0
	global_store_byte v[4:5], v6, off
.LBB11_325:
	s_mov_b64 s[8:9], 0
.LBB11_326:
	s_and_b64 vcc, exec, s[8:9]
	s_cbranch_vccz .LBB11_329
; %bb.327:
	v_mov_b32_e32 v2, 29
	v_cmp_eq_u16_sdwa s[8:9], v27, v2 src0_sel:BYTE_0 src1_sel:DWORD
	s_mov_b64 s[4:5], -1
	s_and_b64 vcc, exec, s[8:9]
	s_cbranch_vccz .LBB11_329
; %bb.328:
	v_trunc_f64_e32 v[2:3], v[0:1]
	s_movk_i32 s4, 0xffe0
	v_ldexp_f64 v[6:7], v[2:3], s4
	v_floor_f64_e32 v[6:7], v[6:7]
	v_fmac_f64_e32 v[2:3], 0xc1f00000, v[6:7]
	v_cvt_u32_f64_e32 v9, v[6:7]
	v_cvt_u32_f64_e32 v8, v[2:3]
	global_store_dwordx2 v[4:5], v[8:9], off
	s_mov_b64 s[6:7], -1
	s_mov_b64 s[4:5], 0
.LBB11_329:
	s_mov_b64 s[8:9], 0
.LBB11_330:
	s_and_b64 vcc, exec, s[8:9]
	s_cbranch_vccz .LBB11_346
; %bb.331:
	v_mov_b32_e32 v2, 27
	v_cmp_lt_i16_sdwa s[8:9], v27, v2 src0_sel:BYTE_0 src1_sel:DWORD
	s_mov_b64 s[6:7], -1
	s_and_b64 vcc, exec, s[8:9]
	s_cbranch_vccnz .LBB11_337
; %bb.332:
	v_cmp_gt_i16_sdwa s[8:9], v27, v2 src0_sel:BYTE_0 src1_sel:DWORD
	s_and_b64 vcc, exec, s[8:9]
	v_cvt_u32_f64_e32 v2, v[0:1]
	s_cbranch_vccz .LBB11_334
; %bb.333:
	s_mov_b64 s[6:7], 0
	global_store_dword v[4:5], v2, off
.LBB11_334:
	s_andn2_b64 vcc, exec, s[6:7]
	s_cbranch_vccnz .LBB11_336
; %bb.335:
	global_store_short v[4:5], v2, off
.LBB11_336:
	s_mov_b64 s[6:7], 0
.LBB11_337:
	s_andn2_b64 vcc, exec, s[6:7]
	s_cbranch_vccnz .LBB11_345
; %bb.338:
	v_cvt_f32_f64_e32 v2, v[0:1]
	v_and_b32_e32 v3, 0x7fffffff, v2
	s_mov_b32 s6, 0x43800000
	v_cmp_gt_u32_e32 vcc, s6, v3
	v_mov_b32_e32 v6, 0x80
	s_and_saveexec_b64 s[6:7], vcc
	s_cbranch_execz .LBB11_344
; %bb.339:
	s_mov_b32 s8, 0x3bffffff
	v_cmp_lt_u32_e32 vcc, s8, v3
	s_mov_b64 s[8:9], 0
                                        ; implicit-def: $vgpr3
	s_and_saveexec_b64 s[10:11], vcc
	s_xor_b64 s[10:11], exec, s[10:11]
	s_cbranch_execz .LBB11_1123
; %bb.340:
	v_bfe_u32 v3, v2, 20, 1
	s_mov_b32 s12, 0x487ffff
	v_add3_u32 v3, v2, v3, s12
	s_mov_b64 s[8:9], exec
	v_lshrrev_b32_e32 v3, 20, v3
	s_or_saveexec_b64 s[10:11], s[10:11]
                                        ; implicit-def: $sgpr12
	s_xor_b64 exec, exec, s[10:11]
	s_cbranch_execnz .LBB11_1124
.LBB11_341:
	s_or_b64 exec, exec, s[10:11]
	v_mov_b32_e32 v6, s12
	s_and_saveexec_b64 s[10:11], s[8:9]
.LBB11_342:
	v_lshrrev_b32_e32 v2, 24, v2
	s_movk_i32 s8, 0x80
	v_and_or_b32 v6, v2, s8, v3
.LBB11_343:
	s_or_b64 exec, exec, s[10:11]
.LBB11_344:
	s_or_b64 exec, exec, s[6:7]
	global_store_byte v[4:5], v6, off
.LBB11_345:
	s_mov_b64 s[6:7], -1
.LBB11_346:
	s_mov_b64 s[8:9], 0
.LBB11_347:
	s_and_b64 vcc, exec, s[8:9]
	s_cbranch_vccz .LBB11_388
; %bb.348:
	v_mov_b32_e32 v2, 22
	v_cmp_gt_i16_sdwa s[10:11], v27, v2 src0_sel:BYTE_0 src1_sel:DWORD
	s_mov_b64 s[8:9], -1
	s_and_b64 vcc, exec, s[10:11]
	s_cbranch_vccz .LBB11_380
; %bb.349:
	v_mov_b32_e32 v2, 24
	v_cmp_lt_i16_sdwa s[8:9], v27, v2 src0_sel:BYTE_0 src1_sel:DWORD
	s_mov_b64 s[6:7], -1
	s_and_b64 vcc, exec, s[8:9]
	s_cbranch_vccnz .LBB11_369
; %bb.350:
	v_cmp_gt_i16_sdwa s[8:9], v27, v2 src0_sel:BYTE_0 src1_sel:DWORD
	s_and_b64 vcc, exec, s[8:9]
	s_cbranch_vccz .LBB11_358
; %bb.351:
	v_cvt_f32_f64_e32 v2, v[0:1]
	v_and_b32_e32 v3, 0x7fffffff, v2
	s_mov_b32 s6, 0x47800000
	v_cmp_gt_u32_e32 vcc, s6, v3
	v_mov_b32_e32 v6, 0x80
	s_and_saveexec_b64 s[6:7], vcc
	s_cbranch_execz .LBB11_357
; %bb.352:
	s_mov_b32 s8, 0x37ffffff
	v_cmp_lt_u32_e32 vcc, s8, v3
	s_mov_b64 s[8:9], 0
                                        ; implicit-def: $vgpr3
	s_and_saveexec_b64 s[10:11], vcc
	s_xor_b64 s[10:11], exec, s[10:11]
	s_cbranch_execz .LBB11_1130
; %bb.353:
	v_bfe_u32 v3, v2, 21, 1
	s_mov_b32 s12, 0x88fffff
	v_add3_u32 v3, v2, v3, s12
	s_mov_b64 s[8:9], exec
	v_lshrrev_b32_e32 v3, 21, v3
	s_or_saveexec_b64 s[10:11], s[10:11]
                                        ; implicit-def: $sgpr12
	s_xor_b64 exec, exec, s[10:11]
	s_cbranch_execnz .LBB11_1131
.LBB11_354:
	s_or_b64 exec, exec, s[10:11]
	v_mov_b32_e32 v6, s12
	s_and_saveexec_b64 s[10:11], s[8:9]
.LBB11_355:
	v_lshrrev_b32_e32 v2, 24, v2
	s_movk_i32 s8, 0x80
	v_and_or_b32 v6, v2, s8, v3
.LBB11_356:
	s_or_b64 exec, exec, s[10:11]
.LBB11_357:
	s_or_b64 exec, exec, s[6:7]
	s_mov_b64 s[6:7], 0
	global_store_byte v[4:5], v6, off
.LBB11_358:
	s_and_b64 vcc, exec, s[6:7]
	s_cbranch_vccz .LBB11_368
; %bb.359:
	v_cvt_f32_f64_e32 v2, v[0:1]
	v_and_b32_e32 v6, 0x7fffffff, v2
	s_mov_b32 s6, 0x43f00000
	v_cmp_gt_u32_e32 vcc, s6, v6
                                        ; implicit-def: $vgpr3
	s_and_saveexec_b64 s[6:7], vcc
	s_xor_b64 s[6:7], exec, s[6:7]
	s_cbranch_execz .LBB11_365
; %bb.360:
	s_mov_b32 s8, 0x3c7fffff
	v_cmp_lt_u32_e32 vcc, s8, v6
                                        ; implicit-def: $vgpr3
	s_and_saveexec_b64 s[8:9], vcc
	s_xor_b64 s[8:9], exec, s[8:9]
; %bb.361:
	v_bfe_u32 v3, v2, 20, 1
	s_mov_b32 s10, 0x407ffff
	v_add3_u32 v3, v2, v3, s10
	v_lshrrev_b32_e32 v6, 20, v3
	v_and_b32_e32 v3, 0xff00000, v3
	s_mov_b32 s10, 0x7f00000
	v_mov_b32_e32 v7, 0x7e
	v_cmp_ne_u32_e32 vcc, s10, v3
	v_cndmask_b32_e32 v3, v7, v6, vcc
; %bb.362:
	s_andn2_saveexec_b64 s[8:9], s[8:9]
; %bb.363:
	s_mov_b32 s10, 0x46800000
	v_add_f32_e64 v3, |v2|, s10
; %bb.364:
	s_or_b64 exec, exec, s[8:9]
                                        ; implicit-def: $vgpr6
.LBB11_365:
	s_andn2_saveexec_b64 s[6:7], s[6:7]
; %bb.366:
	s_mov_b32 s8, 0x7f800000
	v_mov_b32_e32 v3, 0x7e
	v_mov_b32_e32 v7, 0x7f
	v_cmp_lt_u32_e32 vcc, s8, v6
	v_cndmask_b32_e32 v3, v3, v7, vcc
; %bb.367:
	s_or_b64 exec, exec, s[6:7]
	v_lshrrev_b32_e32 v2, 24, v2
	s_movk_i32 s6, 0x80
	v_and_or_b32 v2, v2, s6, v3
	global_store_byte v[4:5], v2, off
.LBB11_368:
	s_mov_b64 s[6:7], 0
.LBB11_369:
	s_andn2_b64 vcc, exec, s[6:7]
	s_cbranch_vccnz .LBB11_379
; %bb.370:
	v_cvt_f32_f64_e32 v2, v[0:1]
	v_and_b32_e32 v6, 0x7fffffff, v2
	s_mov_b32 s6, 0x47800000
	v_cmp_gt_u32_e32 vcc, s6, v6
                                        ; implicit-def: $vgpr3
	s_and_saveexec_b64 s[6:7], vcc
	s_xor_b64 s[6:7], exec, s[6:7]
	s_cbranch_execz .LBB11_376
; %bb.371:
	s_mov_b32 s8, 0x387fffff
	v_cmp_lt_u32_e32 vcc, s8, v6
                                        ; implicit-def: $vgpr3
	s_and_saveexec_b64 s[8:9], vcc
	s_xor_b64 s[8:9], exec, s[8:9]
; %bb.372:
	v_bfe_u32 v3, v2, 21, 1
	s_mov_b32 s10, 0x80fffff
	v_add3_u32 v3, v2, v3, s10
	v_lshrrev_b32_e32 v3, 21, v3
; %bb.373:
	s_andn2_saveexec_b64 s[8:9], s[8:9]
; %bb.374:
	s_mov_b32 s10, 0x43000000
	v_add_f32_e64 v3, |v2|, s10
; %bb.375:
	s_or_b64 exec, exec, s[8:9]
                                        ; implicit-def: $vgpr6
.LBB11_376:
	s_andn2_saveexec_b64 s[6:7], s[6:7]
; %bb.377:
	s_mov_b32 s8, 0x7f800000
	v_mov_b32_e32 v3, 0x7c
	v_mov_b32_e32 v7, 0x7f
	v_cmp_lt_u32_e32 vcc, s8, v6
	v_cndmask_b32_e32 v3, v3, v7, vcc
; %bb.378:
	s_or_b64 exec, exec, s[6:7]
	v_lshrrev_b32_e32 v2, 24, v2
	s_movk_i32 s6, 0x80
	v_and_or_b32 v2, v2, s6, v3
	global_store_byte v[4:5], v2, off
.LBB11_379:
	s_mov_b64 s[8:9], 0
	s_mov_b64 s[6:7], -1
.LBB11_380:
	s_andn2_b64 vcc, exec, s[8:9]
	s_cbranch_vccnz .LBB11_388
; %bb.381:
	v_mov_b32_e32 v2, 14
	v_cmp_gt_i16_sdwa s[10:11], v27, v2 src0_sel:BYTE_0 src1_sel:DWORD
	s_mov_b64 s[8:9], -1
	s_and_b64 vcc, exec, s[10:11]
	s_cbranch_vccz .LBB11_385
; %bb.382:
	v_mov_b32_e32 v2, 15
	v_cmp_eq_u16_sdwa s[8:9], v27, v2 src0_sel:BYTE_0 src1_sel:DWORD
	s_mov_b64 s[4:5], -1
	s_and_b64 vcc, exec, s[8:9]
	s_cbranch_vccz .LBB11_384
; %bb.383:
	v_cvt_f32_f64_e32 v2, v[0:1]
	v_bfe_u32 v3, v2, 16, 1
	s_movk_i32 s4, 0x7fff
	v_add3_u32 v3, v2, v3, s4
	v_lshrrev_b32_e32 v3, 16, v3
	v_mov_b32_e32 v6, 0x7fc0
	v_cmp_o_f32_e32 vcc, v2, v2
	v_cndmask_b32_e32 v2, v6, v3, vcc
	global_store_short v[4:5], v2, off
	s_mov_b64 s[6:7], -1
	s_mov_b64 s[4:5], 0
.LBB11_384:
	s_mov_b64 s[8:9], 0
.LBB11_385:
	s_and_b64 vcc, exec, s[8:9]
	s_cbranch_vccz .LBB11_388
; %bb.386:
	v_mov_b32_e32 v2, 11
	v_cmp_eq_u16_sdwa s[8:9], v27, v2 src0_sel:BYTE_0 src1_sel:DWORD
	s_mov_b64 s[4:5], -1
	s_and_b64 vcc, exec, s[8:9]
	s_cbranch_vccz .LBB11_388
; %bb.387:
	v_cmp_neq_f64_e32 vcc, 0, v[0:1]
	s_mov_b64 s[4:5], 0
	v_cndmask_b32_e64 v2, 0, 1, vcc
	s_mov_b64 s[6:7], -1
	global_store_byte v[4:5], v2, off
.LBB11_388:
	s_mov_b64 s[8:9], 0
.LBB11_389:
	s_and_b64 vcc, exec, s[8:9]
	s_cbranch_vccz .LBB11_428
; %bb.390:
	v_mov_b32_e32 v2, 5
	v_cmp_lt_i16_sdwa s[8:9], v27, v2 src0_sel:BYTE_0 src1_sel:DWORD
	s_mov_b64 s[6:7], -1
	s_and_b64 vcc, exec, s[8:9]
	s_cbranch_vccnz .LBB11_411
; %bb.391:
	v_mov_b32_e32 v2, 8
	v_cmp_lt_i16_sdwa s[8:9], v27, v2 src0_sel:BYTE_0 src1_sel:DWORD
	s_and_b64 vcc, exec, s[8:9]
	s_cbranch_vccnz .LBB11_401
; %bb.392:
	v_mov_b32_e32 v2, 9
	v_cmp_lt_i16_sdwa s[8:9], v27, v2 src0_sel:BYTE_0 src1_sel:DWORD
	s_and_b64 vcc, exec, s[8:9]
	s_cbranch_vccnz .LBB11_398
; %bb.393:
	v_cmp_gt_i16_sdwa s[8:9], v27, v2 src0_sel:BYTE_0 src1_sel:DWORD
	s_and_b64 vcc, exec, s[8:9]
	s_cbranch_vccz .LBB11_395
; %bb.394:
	v_mov_b32_e32 v2, 0
	v_mov_b32_e32 v3, v2
	s_mov_b64 s[6:7], 0
	global_store_dwordx4 v[4:5], v[0:3], off
.LBB11_395:
	s_andn2_b64 vcc, exec, s[6:7]
	s_cbranch_vccnz .LBB11_397
; %bb.396:
	v_cvt_f32_f64_e32 v2, v[0:1]
	v_mov_b32_e32 v3, 0
	global_store_dwordx2 v[4:5], v[2:3], off
.LBB11_397:
	s_mov_b64 s[6:7], 0
.LBB11_398:
	s_andn2_b64 vcc, exec, s[6:7]
	s_cbranch_vccnz .LBB11_400
; %bb.399:
	v_cvt_f32_f64_e32 v2, v[0:1]
	v_cvt_f16_f32_e32 v2, v2
	global_store_dword v[4:5], v2, off
.LBB11_400:
	s_mov_b64 s[6:7], 0
.LBB11_401:
	s_andn2_b64 vcc, exec, s[6:7]
	s_cbranch_vccnz .LBB11_410
; %bb.402:
	v_mov_b32_e32 v2, 6
	v_cmp_lt_i16_sdwa s[8:9], v27, v2 src0_sel:BYTE_0 src1_sel:DWORD
	s_mov_b64 s[6:7], -1
	s_and_b64 vcc, exec, s[8:9]
	s_cbranch_vccnz .LBB11_408
; %bb.403:
	v_cmp_gt_i16_sdwa s[8:9], v27, v2 src0_sel:BYTE_0 src1_sel:DWORD
	s_and_b64 vcc, exec, s[8:9]
	s_cbranch_vccz .LBB11_405
; %bb.404:
	s_mov_b64 s[6:7], 0
	global_store_dwordx2 v[4:5], v[0:1], off
.LBB11_405:
	s_andn2_b64 vcc, exec, s[6:7]
	s_cbranch_vccnz .LBB11_407
; %bb.406:
	v_cvt_f32_f64_e32 v2, v[0:1]
	global_store_dword v[4:5], v2, off
.LBB11_407:
	s_mov_b64 s[6:7], 0
.LBB11_408:
	s_andn2_b64 vcc, exec, s[6:7]
	s_cbranch_vccnz .LBB11_410
; %bb.409:
	v_cvt_f32_f64_e32 v2, v[0:1]
	v_cvt_f16_f32_e32 v2, v2
	global_store_short v[4:5], v2, off
.LBB11_410:
	s_mov_b64 s[6:7], 0
.LBB11_411:
	s_andn2_b64 vcc, exec, s[6:7]
	s_cbranch_vccnz .LBB11_427
; %bb.412:
	v_mov_b32_e32 v2, 2
	v_cmp_lt_i16_sdwa s[8:9], v27, v2 src0_sel:BYTE_0 src1_sel:DWORD
	s_mov_b64 s[6:7], -1
	s_and_b64 vcc, exec, s[8:9]
	s_cbranch_vccnz .LBB11_422
; %bb.413:
	v_mov_b32_e32 v2, 3
	v_cmp_lt_i16_sdwa s[8:9], v27, v2 src0_sel:BYTE_0 src1_sel:DWORD
	s_and_b64 vcc, exec, s[8:9]
	s_cbranch_vccnz .LBB11_419
; %bb.414:
	v_cmp_gt_i16_sdwa s[8:9], v27, v2 src0_sel:BYTE_0 src1_sel:DWORD
	s_and_b64 vcc, exec, s[8:9]
	s_cbranch_vccz .LBB11_416
; %bb.415:
	v_trunc_f64_e32 v[2:3], v[0:1]
	s_movk_i32 s6, 0xffe0
	v_ldexp_f64 v[6:7], v[2:3], s6
	v_floor_f64_e32 v[6:7], v[6:7]
	v_fmac_f64_e32 v[2:3], 0xc1f00000, v[6:7]
	v_cvt_i32_f64_e32 v9, v[6:7]
	v_cvt_u32_f64_e32 v8, v[2:3]
	s_mov_b64 s[6:7], 0
	global_store_dwordx2 v[4:5], v[8:9], off
.LBB11_416:
	s_andn2_b64 vcc, exec, s[6:7]
	s_cbranch_vccnz .LBB11_418
; %bb.417:
	v_cvt_i32_f64_e32 v2, v[0:1]
	global_store_dword v[4:5], v2, off
.LBB11_418:
	s_mov_b64 s[6:7], 0
.LBB11_419:
	s_andn2_b64 vcc, exec, s[6:7]
	s_cbranch_vccnz .LBB11_421
; %bb.420:
	v_cvt_i32_f64_e32 v2, v[0:1]
	global_store_short v[4:5], v2, off
.LBB11_421:
	s_mov_b64 s[6:7], 0
.LBB11_422:
	s_andn2_b64 vcc, exec, s[6:7]
	s_cbranch_vccnz .LBB11_427
; %bb.423:
	v_mov_b32_e32 v2, 0
	v_cmp_gt_i16_sdwa s[8:9], v27, v2 src0_sel:BYTE_0 src1_sel:DWORD
	s_mov_b64 s[6:7], -1
	s_and_b64 vcc, exec, s[8:9]
	s_cbranch_vccz .LBB11_425
; %bb.424:
	v_cvt_i32_f64_e32 v2, v[0:1]
	s_mov_b64 s[6:7], 0
	global_store_byte v[4:5], v2, off
.LBB11_425:
	s_andn2_b64 vcc, exec, s[6:7]
	s_cbranch_vccnz .LBB11_427
; %bb.426:
	v_trunc_f64_e32 v[0:1], v[0:1]
	s_movk_i32 s6, 0xffe0
	v_ldexp_f64 v[2:3], v[0:1], s6
	v_floor_f64_e32 v[2:3], v[2:3]
	v_fmac_f64_e32 v[0:1], 0xc1f00000, v[2:3]
	v_cvt_u32_f64_e32 v0, v[0:1]
	global_store_byte v[4:5], v0, off
.LBB11_427:
	s_mov_b64 s[6:7], -1
.LBB11_428:
	s_andn2_b64 vcc, exec, s[6:7]
	s_cbranch_vccnz .LBB11_430
; %bb.429:
	v_add_u32_e32 v26, 0x80, v26
	s_mov_b64 s[6:7], -1
	s_branch .LBB11_431
.LBB11_430:
	s_mov_b64 s[6:7], 0
                                        ; implicit-def: $vgpr26
.LBB11_431:
	s_andn2_b64 s[8:9], s[66:67], exec
	s_and_b64 s[4:5], s[4:5], exec
	s_or_b64 s[72:73], s[8:9], s[4:5]
	s_orn2_b64 s[6:7], s[6:7], exec
.LBB11_432:
	s_or_b64 exec, exec, s[70:71]
	s_mov_b64 s[4:5], 0
	s_mov_b64 s[10:11], 0
                                        ; implicit-def: $vgpr6
                                        ; implicit-def: $vgpr4_vgpr5
                                        ; implicit-def: $vgpr0_vgpr1
	s_and_saveexec_b64 s[70:71], s[6:7]
	s_cbranch_execz .LBB11_528
; %bb.433:
	v_cmp_gt_i32_e32 vcc, s74, v26
	s_mov_b64 s[6:7], 0
	s_mov_b64 s[8:9], s[72:73]
                                        ; implicit-def: $vgpr6
                                        ; implicit-def: $vgpr4_vgpr5
                                        ; implicit-def: $vgpr0_vgpr1
	s_and_saveexec_b64 s[74:75], vcc
	s_cbranch_execz .LBB11_527
; %bb.434:
	s_andn2_b64 vcc, exec, s[50:51]
	s_cbranch_vccnz .LBB11_440
; %bb.435:
	s_mov_b32 s24, 0
	s_andn2_b64 vcc, exec, s[60:61]
	v_mov_b32_e32 v2, 0
	v_mov_b32_e32 v24, 0
	s_cbranch_vccnz .LBB11_446
; %bb.436:
	s_add_i32 s77, s77, 1
	s_cmp_eq_u32 s76, 2
	s_cbranch_scc1 .LBB11_441
; %bb.437:
	s_and_b32 s24, s77, 28
	s_mov_b32 s25, 0
	v_mov_b32_e32 v24, 0
	s_mov_b64 s[26:27], s[34:35]
	v_mov_b32_e32 v0, v26
	v_mov_b32_e32 v2, 0
.LBB11_438:                             ; =>This Inner Loop Header: Depth=1
	s_load_dwordx8 s[12:19], s[26:27], 0x4
	s_load_dwordx4 s[20:23], s[26:27], 0x24
	s_load_dwordx8 s[4:11], s[58:59], 0x0
	s_add_u32 s26, s26, 48
	s_addc_u32 s27, s27, 0
	s_waitcnt lgkmcnt(0)
	v_mul_hi_u32 v1, s13, v0
	v_add_u32_e32 v1, v0, v1
	v_lshrrev_b32_e32 v1, s14, v1
	v_mul_lo_u32 v3, v1, s12
	v_mul_hi_u32 v4, s16, v1
	v_sub_u32_e32 v0, v0, v3
	v_add_u32_e32 v3, v1, v4
	v_lshrrev_b32_e32 v3, s17, v3
	v_mul_lo_u32 v5, v3, s15
	v_mul_hi_u32 v6, s19, v3
	v_sub_u32_e32 v1, v1, v5
	v_add_u32_e32 v5, v3, v6
	v_mul_lo_u32 v4, v0, s5
	v_mul_lo_u32 v0, v0, s4
	v_mul_lo_u32 v6, v1, s7
	v_mul_lo_u32 v1, v1, s6
	v_lshrrev_b32_e32 v5, s20, v5
	v_add3_u32 v1, v0, v24, v1
	v_add3_u32 v2, v4, v2, v6
	v_mul_lo_u32 v0, v5, s18
	v_mul_hi_u32 v4, s22, v5
	v_sub_u32_e32 v0, v3, v0
	v_add_u32_e32 v3, v5, v4
	v_mul_lo_u32 v4, v0, s8
	v_mul_lo_u32 v6, v0, s9
	v_lshrrev_b32_e32 v0, s23, v3
	s_add_i32 s25, s25, 4
	v_mul_lo_u32 v3, v0, s21
	s_add_u32 s58, s58, 32
	v_sub_u32_e32 v3, v5, v3
	s_addc_u32 s59, s59, 0
	v_mul_lo_u32 v5, v3, s10
	v_mul_lo_u32 v3, v3, s11
	s_cmp_eq_u32 s24, s25
	v_add3_u32 v2, v6, v2, v3
	v_add3_u32 v24, v4, v1, v5
	s_cbranch_scc0 .LBB11_438
; %bb.439:
	v_mov_b32_e32 v25, v2
	s_branch .LBB11_442
.LBB11_440:
	s_mov_b64 s[4:5], -1
                                        ; implicit-def: $vgpr2
                                        ; implicit-def: $vgpr24
	s_branch .LBB11_447
.LBB11_441:
	s_mov_b32 s25, s24
	v_pk_mov_b32 v[24:25], s[24:25], s[24:25] op_sel:[0,1]
                                        ; implicit-def: $vgpr2
	v_mov_b32_e32 v0, v26
.LBB11_442:
	s_and_b32 s8, s77, 3
	s_cmp_eq_u32 s8, 0
	s_cbranch_scc1 .LBB11_446
; %bb.443:
	s_lshl_b32 s4, s24, 3
	s_add_u32 s4, s4, s34
	s_addc_u32 s5, s35, 0
	s_add_u32 s4, s4, 0xc4
	s_addc_u32 s5, s5, 0
	s_mul_i32 s6, s24, 12
	s_add_u32 s6, s34, s6
	s_addc_u32 s7, s35, 0
.LBB11_444:                             ; =>This Inner Loop Header: Depth=1
	s_load_dwordx2 s[10:11], s[6:7], 0x4
	s_load_dword s9, s[6:7], 0xc
	s_load_dwordx2 s[12:13], s[4:5], 0x0
	s_add_u32 s6, s6, 12
	s_addc_u32 s7, s7, 0
	s_waitcnt lgkmcnt(0)
	v_mul_hi_u32 v1, s11, v0
	v_add_u32_e32 v1, v0, v1
	v_lshrrev_b32_e32 v1, s9, v1
	v_mul_lo_u32 v3, v1, s10
	v_mov_b32_e32 v2, v25
	s_add_u32 s4, s4, 8
	v_sub_u32_e32 v4, v0, v3
	s_addc_u32 s5, s5, 0
	s_add_i32 s8, s8, -1
	v_mad_u64_u32 v[2:3], s[10:11], v4, s13, v[2:3]
	v_mad_u64_u32 v[24:25], s[10:11], v4, s12, v[24:25]
	s_cmp_lg_u32 s8, 0
	v_mov_b32_e32 v0, v1
	v_mov_b32_e32 v25, v2
	s_cbranch_scc1 .LBB11_444
; %bb.445:
	v_mov_b32_e32 v2, v25
.LBB11_446:
	s_mov_b64 s[4:5], 0
.LBB11_447:
	s_andn2_b64 vcc, exec, s[4:5]
	s_cbranch_vccnz .LBB11_450
; %bb.448:
	s_waitcnt lgkmcnt(0)
	v_mul_hi_u32 v0, s45, v26
	v_add_u32_e32 v0, v26, v0
	v_lshrrev_b32_e32 v0, s46, v0
	v_mul_lo_u32 v1, v0, s44
	v_sub_u32_e32 v1, v26, v1
	v_mul_lo_u32 v2, v1, s41
	s_andn2_b64 vcc, exec, s[56:57]
	v_mul_lo_u32 v24, v1, s40
	s_cbranch_vccnz .LBB11_450
; %bb.449:
	v_mul_hi_u32 v1, s54, v0
	v_add_u32_e32 v1, v0, v1
	v_lshrrev_b32_e32 v1, s55, v1
	v_mul_lo_u32 v1, v1, s47
	v_sub_u32_e32 v0, v0, v1
	v_mad_u64_u32 v[24:25], s[4:5], v0, s42, v[24:25]
	v_mad_u64_u32 v[2:3], s[4:5], v0, s43, v[2:3]
.LBB11_450:
	s_waitcnt lgkmcnt(0)
	v_mov_b32_e32 v0, s38
	v_mov_b32_e32 v1, s39
	;; [unrolled: 1-line block ×3, first 2 shown]
	s_getpc_b64 s[4:5]
	s_add_u32 s4, s4, _ZN2at6native6invokeIZZZNS0_12_GLOBAL__N_137scaled_modified_bessel_k0_kernel_cudaERNS_18TensorIteratorBaseEENKUlvE_clEvENKUlvE_clEvEUldE_j15function_traitsIS7_EEENT1_11result_typeERKT_PrKPcPKT0_PKN3c1010ScalarTypeEi@rel32@lo+4
	s_addc_u32 s5, s5, _ZN2at6native6invokeIZZZNS0_12_GLOBAL__N_137scaled_modified_bessel_k0_kernel_cudaERNS_18TensorIteratorBaseEENKUlvE_clEvENKUlvE_clEvEUldE_j15function_traitsIS7_EEENT1_11result_typeERKT_PrKPcPKT0_PKN3c1010ScalarTypeEi@rel32@hi+12
	s_swappc_b64 s[30:31], s[4:5]
	v_mov_b32_e32 v2, s37
	v_add_co_u32_e32 v4, vcc, s36, v24
	v_addc_co_u32_e32 v5, vcc, 0, v2, vcc
	v_and_b32_e32 v6, 0xff, v27
	v_cmp_gt_i16_e32 vcc, 11, v6
	s_cbranch_vccnz .LBB11_524
; %bb.451:
	v_cmp_lt_i16_e32 vcc, 25, v6
	s_mov_b64 s[8:9], -1
	s_mov_b64 s[4:5], s[72:73]
	s_cbranch_vccz .LBB11_484
; %bb.452:
	v_cmp_lt_i16_e32 vcc, 28, v6
	s_mov_b64 s[6:7], -1
	s_mov_b64 s[4:5], s[72:73]
	s_cbranch_vccz .LBB11_468
; %bb.453:
	v_cmp_lt_i16_e32 vcc, 43, v6
	s_mov_b64 s[4:5], s[72:73]
	s_cbranch_vccz .LBB11_464
; %bb.454:
	v_cmp_lt_i16_e32 vcc, 45, v6
	s_mov_b64 s[4:5], s[72:73]
	s_cbranch_vccz .LBB11_458
; %bb.455:
	v_cmp_eq_u16_e32 vcc, 46, v6
	s_mov_b64 s[4:5], -1
	s_cbranch_vccz .LBB11_457
; %bb.456:
	v_cvt_f32_f64_e32 v2, v[0:1]
	v_bfe_u32 v3, v2, 16, 1
	s_movk_i32 s4, 0x7fff
	v_add3_u32 v3, v2, v3, s4
	v_lshrrev_b32_e32 v3, 16, v3
	v_mov_b32_e32 v7, 0x7fc0
	v_cmp_o_f32_e32 vcc, v2, v2
	v_cndmask_b32_e32 v2, v7, v3, vcc
	global_store_dword v[4:5], v2, off
	s_mov_b64 s[4:5], 0
.LBB11_457:
	s_mov_b64 s[6:7], 0
.LBB11_458:
	s_and_b64 vcc, exec, s[6:7]
	s_cbranch_vccz .LBB11_463
; %bb.459:
	v_cmp_eq_u16_e32 vcc, 44, v6
	s_mov_b64 s[4:5], -1
	s_cbranch_vccz .LBB11_463
; %bb.460:
	v_cvt_f32_f64_e32 v2, v[0:1]
	v_bfe_u32 v3, v2, 23, 8
	s_movk_i32 s4, 0xff
	v_cmp_ne_u32_e32 vcc, s4, v3
	v_mov_b32_e32 v7, 0xff
	s_and_saveexec_b64 s[6:7], vcc
; %bb.461:
	s_mov_b32 s4, 0x3fffff
	v_lshrrev_b32_e32 v7, 23, v2
	v_and_b32_e32 v8, 0x400000, v2
	v_and_or_b32 v2, v2, s4, v3
	v_cmp_ne_u32_e32 vcc, 0, v8
	v_cmp_ne_u32_e64 s[4:5], 0, v2
	s_and_b64 s[4:5], vcc, s[4:5]
	v_cndmask_b32_e64 v2, 0, 1, s[4:5]
	v_add_u32_e32 v7, v7, v2
; %bb.462:
	s_or_b64 exec, exec, s[6:7]
	s_mov_b64 s[4:5], 0
	global_store_byte v[4:5], v7, off
.LBB11_463:
	s_mov_b64 s[6:7], 0
.LBB11_464:
	s_and_b64 vcc, exec, s[6:7]
	s_cbranch_vccz .LBB11_467
; %bb.465:
	v_cmp_eq_u16_e32 vcc, 29, v6
	s_mov_b64 s[4:5], -1
	s_cbranch_vccz .LBB11_467
; %bb.466:
	v_trunc_f64_e32 v[2:3], v[0:1]
	s_movk_i32 s4, 0xffe0
	v_ldexp_f64 v[8:9], v[2:3], s4
	v_floor_f64_e32 v[8:9], v[8:9]
	v_fmac_f64_e32 v[2:3], 0xc1f00000, v[8:9]
	v_cvt_u32_f64_e32 v11, v[8:9]
	v_cvt_u32_f64_e32 v10, v[2:3]
	global_store_dwordx2 v[4:5], v[10:11], off
	s_mov_b64 s[4:5], 0
.LBB11_467:
	s_mov_b64 s[6:7], 0
.LBB11_468:
	s_and_b64 vcc, exec, s[6:7]
	s_cbranch_vccz .LBB11_483
; %bb.469:
	v_cmp_gt_i16_e32 vcc, 27, v6
	s_mov_b64 s[6:7], -1
	s_cbranch_vccnz .LBB11_475
; %bb.470:
	v_cmp_lt_i16_e32 vcc, 27, v6
	v_cvt_u32_f64_e32 v2, v[0:1]
	s_cbranch_vccz .LBB11_472
; %bb.471:
	s_mov_b64 s[6:7], 0
	global_store_dword v[4:5], v2, off
.LBB11_472:
	s_andn2_b64 vcc, exec, s[6:7]
	s_cbranch_vccnz .LBB11_474
; %bb.473:
	global_store_short v[4:5], v2, off
.LBB11_474:
	s_mov_b64 s[6:7], 0
.LBB11_475:
	s_andn2_b64 vcc, exec, s[6:7]
	s_cbranch_vccnz .LBB11_483
; %bb.476:
	v_cvt_f32_f64_e32 v2, v[0:1]
	v_and_b32_e32 v3, 0x7fffffff, v2
	s_mov_b32 s6, 0x43800000
	v_cmp_gt_u32_e32 vcc, s6, v3
	v_mov_b32_e32 v7, 0x80
	s_and_saveexec_b64 s[6:7], vcc
	s_cbranch_execz .LBB11_482
; %bb.477:
	s_mov_b32 s8, 0x3bffffff
	v_cmp_lt_u32_e32 vcc, s8, v3
	s_mov_b64 s[8:9], 0
                                        ; implicit-def: $vgpr3
	s_and_saveexec_b64 s[10:11], vcc
	s_xor_b64 s[10:11], exec, s[10:11]
	s_cbranch_execz .LBB11_1132
; %bb.478:
	v_bfe_u32 v3, v2, 20, 1
	s_mov_b32 s12, 0x487ffff
	v_add3_u32 v3, v2, v3, s12
	s_mov_b64 s[8:9], exec
	v_lshrrev_b32_e32 v3, 20, v3
	s_or_saveexec_b64 s[10:11], s[10:11]
                                        ; implicit-def: $sgpr12
	s_xor_b64 exec, exec, s[10:11]
	s_cbranch_execnz .LBB11_1133
.LBB11_479:
	s_or_b64 exec, exec, s[10:11]
	v_mov_b32_e32 v7, s12
	s_and_saveexec_b64 s[10:11], s[8:9]
.LBB11_480:
	v_lshrrev_b32_e32 v2, 24, v2
	s_movk_i32 s8, 0x80
	v_and_or_b32 v7, v2, s8, v3
.LBB11_481:
	s_or_b64 exec, exec, s[10:11]
.LBB11_482:
	s_or_b64 exec, exec, s[6:7]
	global_store_byte v[4:5], v7, off
.LBB11_483:
	s_mov_b64 s[8:9], 0
.LBB11_484:
	s_mov_b64 s[6:7], 0
	s_and_b64 vcc, exec, s[8:9]
	s_cbranch_vccz .LBB11_525
; %bb.485:
	v_cmp_lt_i16_e32 vcc, 22, v6
	s_mov_b64 s[8:9], -1
	s_cbranch_vccz .LBB11_517
; %bb.486:
	v_cmp_gt_i16_e32 vcc, 24, v6
	s_cbranch_vccnz .LBB11_506
; %bb.487:
	v_cmp_lt_i16_e32 vcc, 24, v6
	s_cbranch_vccz .LBB11_495
; %bb.488:
	v_cvt_f32_f64_e32 v2, v[0:1]
	v_and_b32_e32 v3, 0x7fffffff, v2
	s_mov_b32 s8, 0x47800000
	v_cmp_gt_u32_e32 vcc, s8, v3
	v_mov_b32_e32 v7, 0x80
	s_and_saveexec_b64 s[8:9], vcc
	s_cbranch_execz .LBB11_494
; %bb.489:
	s_mov_b32 s10, 0x37ffffff
	v_cmp_lt_u32_e32 vcc, s10, v3
	s_mov_b64 s[10:11], 0
                                        ; implicit-def: $vgpr3
	s_and_saveexec_b64 s[12:13], vcc
	s_xor_b64 s[12:13], exec, s[12:13]
	s_cbranch_execz .LBB11_1136
; %bb.490:
	v_bfe_u32 v3, v2, 21, 1
	s_mov_b32 s14, 0x88fffff
	v_add3_u32 v3, v2, v3, s14
	s_mov_b64 s[10:11], exec
	v_lshrrev_b32_e32 v3, 21, v3
	s_or_saveexec_b64 s[12:13], s[12:13]
                                        ; implicit-def: $sgpr14
	s_xor_b64 exec, exec, s[12:13]
	s_cbranch_execnz .LBB11_1137
.LBB11_491:
	s_or_b64 exec, exec, s[12:13]
	v_mov_b32_e32 v7, s14
	s_and_saveexec_b64 s[12:13], s[10:11]
.LBB11_492:
	v_lshrrev_b32_e32 v2, 24, v2
	s_movk_i32 s10, 0x80
	v_and_or_b32 v7, v2, s10, v3
.LBB11_493:
	s_or_b64 exec, exec, s[12:13]
.LBB11_494:
	s_or_b64 exec, exec, s[8:9]
	s_mov_b64 s[8:9], 0
	global_store_byte v[4:5], v7, off
.LBB11_495:
	s_and_b64 vcc, exec, s[8:9]
	s_cbranch_vccz .LBB11_505
; %bb.496:
	v_cvt_f32_f64_e32 v2, v[0:1]
	v_and_b32_e32 v7, 0x7fffffff, v2
	s_mov_b32 s8, 0x43f00000
	v_cmp_gt_u32_e32 vcc, s8, v7
                                        ; implicit-def: $vgpr3
	s_and_saveexec_b64 s[8:9], vcc
	s_xor_b64 s[8:9], exec, s[8:9]
	s_cbranch_execz .LBB11_502
; %bb.497:
	s_mov_b32 s10, 0x3c7fffff
	v_cmp_lt_u32_e32 vcc, s10, v7
                                        ; implicit-def: $vgpr3
	s_and_saveexec_b64 s[10:11], vcc
	s_xor_b64 s[10:11], exec, s[10:11]
; %bb.498:
	v_bfe_u32 v3, v2, 20, 1
	s_mov_b32 s12, 0x407ffff
	v_add3_u32 v3, v2, v3, s12
	v_lshrrev_b32_e32 v7, 20, v3
	v_and_b32_e32 v3, 0xff00000, v3
	s_mov_b32 s12, 0x7f00000
	v_mov_b32_e32 v8, 0x7e
	v_cmp_ne_u32_e32 vcc, s12, v3
	v_cndmask_b32_e32 v3, v8, v7, vcc
; %bb.499:
	s_andn2_saveexec_b64 s[10:11], s[10:11]
; %bb.500:
	s_mov_b32 s12, 0x46800000
	v_add_f32_e64 v3, |v2|, s12
; %bb.501:
	s_or_b64 exec, exec, s[10:11]
                                        ; implicit-def: $vgpr7
.LBB11_502:
	s_andn2_saveexec_b64 s[8:9], s[8:9]
; %bb.503:
	s_mov_b32 s10, 0x7f800000
	v_mov_b32_e32 v3, 0x7e
	v_mov_b32_e32 v8, 0x7f
	v_cmp_lt_u32_e32 vcc, s10, v7
	v_cndmask_b32_e32 v3, v3, v8, vcc
; %bb.504:
	s_or_b64 exec, exec, s[8:9]
	v_lshrrev_b32_e32 v2, 24, v2
	s_movk_i32 s8, 0x80
	v_and_or_b32 v2, v2, s8, v3
	global_store_byte v[4:5], v2, off
.LBB11_505:
	s_mov_b64 s[8:9], 0
.LBB11_506:
	s_andn2_b64 vcc, exec, s[8:9]
	s_cbranch_vccnz .LBB11_516
; %bb.507:
	v_cvt_f32_f64_e32 v2, v[0:1]
	v_and_b32_e32 v7, 0x7fffffff, v2
	s_mov_b32 s8, 0x47800000
	v_cmp_gt_u32_e32 vcc, s8, v7
                                        ; implicit-def: $vgpr3
	s_and_saveexec_b64 s[8:9], vcc
	s_xor_b64 s[8:9], exec, s[8:9]
	s_cbranch_execz .LBB11_513
; %bb.508:
	s_mov_b32 s10, 0x387fffff
	v_cmp_lt_u32_e32 vcc, s10, v7
                                        ; implicit-def: $vgpr3
	s_and_saveexec_b64 s[10:11], vcc
	s_xor_b64 s[10:11], exec, s[10:11]
; %bb.509:
	v_bfe_u32 v3, v2, 21, 1
	s_mov_b32 s12, 0x80fffff
	v_add3_u32 v3, v2, v3, s12
	v_lshrrev_b32_e32 v3, 21, v3
; %bb.510:
	s_andn2_saveexec_b64 s[10:11], s[10:11]
; %bb.511:
	s_mov_b32 s12, 0x43000000
	v_add_f32_e64 v3, |v2|, s12
; %bb.512:
	s_or_b64 exec, exec, s[10:11]
                                        ; implicit-def: $vgpr7
.LBB11_513:
	s_andn2_saveexec_b64 s[8:9], s[8:9]
; %bb.514:
	s_mov_b32 s10, 0x7f800000
	v_mov_b32_e32 v3, 0x7c
	v_mov_b32_e32 v8, 0x7f
	v_cmp_lt_u32_e32 vcc, s10, v7
	v_cndmask_b32_e32 v3, v3, v8, vcc
; %bb.515:
	s_or_b64 exec, exec, s[8:9]
	v_lshrrev_b32_e32 v2, 24, v2
	s_movk_i32 s8, 0x80
	v_and_or_b32 v2, v2, s8, v3
	global_store_byte v[4:5], v2, off
.LBB11_516:
	s_mov_b64 s[8:9], 0
.LBB11_517:
	s_andn2_b64 vcc, exec, s[8:9]
	s_mov_b64 s[8:9], 0
	s_cbranch_vccnz .LBB11_526
; %bb.518:
	v_cmp_lt_i16_e32 vcc, 14, v6
	s_mov_b64 s[10:11], -1
	s_cbranch_vccz .LBB11_522
; %bb.519:
	v_cmp_eq_u16_e32 vcc, 15, v6
	s_mov_b64 s[4:5], -1
	s_cbranch_vccz .LBB11_521
; %bb.520:
	v_cvt_f32_f64_e32 v2, v[0:1]
	v_bfe_u32 v3, v2, 16, 1
	s_movk_i32 s4, 0x7fff
	v_add3_u32 v3, v2, v3, s4
	v_lshrrev_b32_e32 v3, 16, v3
	v_mov_b32_e32 v7, 0x7fc0
	v_cmp_o_f32_e32 vcc, v2, v2
	v_cndmask_b32_e32 v2, v7, v3, vcc
	global_store_short v[4:5], v2, off
	s_mov_b64 s[4:5], 0
.LBB11_521:
	s_mov_b64 s[10:11], 0
.LBB11_522:
	s_and_b64 vcc, exec, s[10:11]
	s_cbranch_vccz .LBB11_526
; %bb.523:
	v_cmp_ne_u16_e32 vcc, 11, v6
	s_andn2_b64 s[4:5], s[4:5], exec
	s_and_b64 s[10:11], vcc, exec
	s_mov_b64 s[8:9], -1
	s_or_b64 s[4:5], s[4:5], s[10:11]
	s_branch .LBB11_526
.LBB11_524:
	s_mov_b64 s[8:9], 0
	s_mov_b64 s[6:7], -1
	s_mov_b64 s[4:5], s[72:73]
	s_branch .LBB11_526
.LBB11_525:
	s_mov_b64 s[8:9], 0
.LBB11_526:
	s_and_b64 s[10:11], s[6:7], exec
	s_and_b64 s[6:7], s[8:9], exec
	s_andn2_b64 s[8:9], s[72:73], exec
	s_and_b64 s[4:5], s[4:5], exec
	s_or_b64 s[8:9], s[8:9], s[4:5]
.LBB11_527:
	s_or_b64 exec, exec, s[74:75]
	s_and_b64 s[4:5], s[6:7], exec
	s_andn2_b64 s[6:7], s[72:73], exec
	s_and_b64 s[8:9], s[8:9], exec
	s_and_b64 s[10:11], s[10:11], exec
	s_or_b64 s[72:73], s[6:7], s[8:9]
.LBB11_528:
	s_or_b64 exec, exec, s[70:71]
	s_and_b64 s[6:7], s[10:11], exec
	s_andn2_b64 s[8:9], s[66:67], exec
	s_and_b64 s[10:11], s[72:73], exec
	s_and_b64 s[4:5], s[4:5], exec
	s_or_b64 s[66:67], s[8:9], s[10:11]
.LBB11_529:
	s_or_b64 exec, exec, s[68:69]
	s_and_b64 s[68:69], s[4:5], exec
	s_andn2_b64 s[4:5], s[62:63], exec
	s_and_b64 s[8:9], s[66:67], exec
	s_and_b64 s[6:7], s[6:7], exec
	s_or_b64 s[62:63], s[4:5], s[8:9]
	s_or_b64 exec, exec, s[64:65]
	s_mov_b64 s[4:5], 0
	s_and_saveexec_b64 s[8:9], s[62:63]
	s_cbranch_execz .LBB11_148
.LBB11_530:
	s_mov_b64 s[4:5], exec
	s_andn2_b64 s[68:69], s[68:69], exec
	s_trap 2
	s_or_b64 exec, exec, s[8:9]
	s_and_saveexec_b64 s[8:9], s[68:69]
	s_xor_b64 s[8:9], exec, s[8:9]
	s_cbranch_execnz .LBB11_149
.LBB11_531:
	s_or_b64 exec, exec, s[8:9]
	s_and_saveexec_b64 s[8:9], s[6:7]
	s_xor_b64 s[6:7], exec, s[8:9]
	s_cbranch_execz .LBB11_569
.LBB11_532:
	v_cmp_gt_i16_e32 vcc, 5, v6
	s_mov_b64 s[8:9], -1
	s_cbranch_vccnz .LBB11_553
; %bb.533:
	v_cmp_gt_i16_e32 vcc, 8, v6
	s_cbranch_vccnz .LBB11_543
; %bb.534:
	v_cmp_gt_i16_e32 vcc, 9, v6
	s_cbranch_vccnz .LBB11_540
; %bb.535:
	v_cmp_lt_i16_e32 vcc, 9, v6
	s_cbranch_vccz .LBB11_537
; %bb.536:
	v_mov_b32_e32 v2, 0
	v_mov_b32_e32 v3, v2
	s_mov_b64 s[8:9], 0
	global_store_dwordx4 v[4:5], v[0:3], off
.LBB11_537:
	s_andn2_b64 vcc, exec, s[8:9]
	s_cbranch_vccnz .LBB11_539
; %bb.538:
	v_cvt_f32_f64_e32 v2, v[0:1]
	v_mov_b32_e32 v3, 0
	global_store_dwordx2 v[4:5], v[2:3], off
.LBB11_539:
	s_mov_b64 s[8:9], 0
.LBB11_540:
	s_andn2_b64 vcc, exec, s[8:9]
	s_cbranch_vccnz .LBB11_542
; %bb.541:
	v_cvt_f32_f64_e32 v2, v[0:1]
	v_cvt_f16_f32_e32 v2, v2
	global_store_dword v[4:5], v2, off
.LBB11_542:
	s_mov_b64 s[8:9], 0
.LBB11_543:
	s_andn2_b64 vcc, exec, s[8:9]
	s_cbranch_vccnz .LBB11_552
; %bb.544:
	v_cmp_gt_i16_e32 vcc, 6, v6
	s_mov_b64 s[8:9], -1
	s_cbranch_vccnz .LBB11_550
; %bb.545:
	v_cmp_lt_i16_e32 vcc, 6, v6
	s_cbranch_vccz .LBB11_547
; %bb.546:
	s_mov_b64 s[8:9], 0
	global_store_dwordx2 v[4:5], v[0:1], off
.LBB11_547:
	s_andn2_b64 vcc, exec, s[8:9]
	s_cbranch_vccnz .LBB11_549
; %bb.548:
	v_cvt_f32_f64_e32 v2, v[0:1]
	global_store_dword v[4:5], v2, off
.LBB11_549:
	s_mov_b64 s[8:9], 0
.LBB11_550:
	s_andn2_b64 vcc, exec, s[8:9]
	s_cbranch_vccnz .LBB11_552
; %bb.551:
	v_cvt_f32_f64_e32 v2, v[0:1]
	v_cvt_f16_f32_e32 v2, v2
	global_store_short v[4:5], v2, off
.LBB11_552:
	s_mov_b64 s[8:9], 0
.LBB11_553:
	s_andn2_b64 vcc, exec, s[8:9]
	s_cbranch_vccnz .LBB11_569
; %bb.554:
	v_cmp_gt_i16_e32 vcc, 2, v6
	s_mov_b64 s[8:9], -1
	s_cbranch_vccnz .LBB11_564
; %bb.555:
	v_cmp_gt_i16_e32 vcc, 3, v6
	s_cbranch_vccnz .LBB11_561
; %bb.556:
	v_cmp_lt_i16_e32 vcc, 3, v6
	s_cbranch_vccz .LBB11_558
; %bb.557:
	v_trunc_f64_e32 v[2:3], v[0:1]
	s_movk_i32 s8, 0xffe0
	v_ldexp_f64 v[8:9], v[2:3], s8
	v_floor_f64_e32 v[8:9], v[8:9]
	v_fmac_f64_e32 v[2:3], 0xc1f00000, v[8:9]
	v_cvt_i32_f64_e32 v11, v[8:9]
	v_cvt_u32_f64_e32 v10, v[2:3]
	s_mov_b64 s[8:9], 0
	global_store_dwordx2 v[4:5], v[10:11], off
.LBB11_558:
	s_andn2_b64 vcc, exec, s[8:9]
	s_cbranch_vccnz .LBB11_560
; %bb.559:
	v_cvt_i32_f64_e32 v2, v[0:1]
	global_store_dword v[4:5], v2, off
.LBB11_560:
	s_mov_b64 s[8:9], 0
.LBB11_561:
	s_andn2_b64 vcc, exec, s[8:9]
	s_cbranch_vccnz .LBB11_563
; %bb.562:
	v_cvt_i32_f64_e32 v2, v[0:1]
	global_store_short v[4:5], v2, off
.LBB11_563:
	s_mov_b64 s[8:9], 0
.LBB11_564:
	s_andn2_b64 vcc, exec, s[8:9]
	s_cbranch_vccnz .LBB11_569
; %bb.565:
	v_cmp_lt_i16_e32 vcc, 0, v6
	s_mov_b64 s[8:9], -1
	s_cbranch_vccz .LBB11_567
; %bb.566:
	v_cvt_i32_f64_e32 v2, v[0:1]
	s_mov_b64 s[8:9], 0
	global_store_byte v[4:5], v2, off
.LBB11_567:
	s_andn2_b64 vcc, exec, s[8:9]
	s_cbranch_vccnz .LBB11_569
; %bb.568:
	v_trunc_f64_e32 v[0:1], v[0:1]
	s_movk_i32 s8, 0xffe0
	v_ldexp_f64 v[2:3], v[0:1], s8
	v_floor_f64_e32 v[2:3], v[2:3]
	v_fmac_f64_e32 v[0:1], 0xc1f00000, v[2:3]
	v_cvt_u32_f64_e32 v0, v[0:1]
	global_store_byte v[4:5], v0, off
.LBB11_569:
	s_or_b64 exec, exec, s[6:7]
	s_waitcnt lgkmcnt(0)
	s_and_b64 s[40:41], s[4:5], exec
                                        ; implicit-def: $vgpr6
                                        ; implicit-def: $vgpr26
.LBB11_570:
	s_or_saveexec_b64 s[42:43], s[52:53]
	s_mov_b64 s[4:5], 0
                                        ; implicit-def: $vgpr7
                                        ; implicit-def: $vgpr4_vgpr5
                                        ; implicit-def: $vgpr0_vgpr1
	s_xor_b64 exec, exec, s[42:43]
	s_cbranch_execz .LBB11_1077
; %bb.571:
	v_cndmask_b32_e64 v0, 0, 1, s[50:51]
	v_cmp_ne_u32_e64 s[4:5], 1, v0
	s_andn2_b64 vcc, exec, s[50:51]
	s_cbranch_vccnz .LBB11_578
; %bb.572:
	s_mov_b32 s6, 0
	s_cmp_lg_u32 s33, 0
	v_mov_b32_e32 v2, 0
	v_mov_b32_e32 v40, 0
	s_cbranch_scc0 .LBB11_577
; %bb.573:
	s_min_u32 s38, s76, 15
	s_add_i32 s38, s38, 1
	s_cmp_eq_u32 s76, 2
	s_cbranch_scc1 .LBB11_579
; %bb.574:
	s_add_u32 s30, s34, 0xc4
	s_addc_u32 s31, s35, 0
	s_and_b32 s6, s38, 28
	s_mov_b32 s7, 0
	v_mov_b32_e32 v40, 0
	s_mov_b64 s[36:37], s[34:35]
	v_mov_b32_e32 v0, v26
	v_mov_b32_e32 v2, 0
.LBB11_575:                             ; =>This Inner Loop Header: Depth=1
	s_load_dwordx8 s[16:23], s[36:37], 0x4
	s_load_dwordx4 s[24:27], s[36:37], 0x24
	s_load_dwordx8 s[8:15], s[30:31], 0x0
	s_add_u32 s36, s36, 48
	s_addc_u32 s37, s37, 0
	s_waitcnt lgkmcnt(0)
	v_mul_hi_u32 v1, s17, v0
	v_add_u32_e32 v1, v0, v1
	v_lshrrev_b32_e32 v1, s18, v1
	v_mul_lo_u32 v3, v1, s16
	v_mul_hi_u32 v4, s20, v1
	v_sub_u32_e32 v0, v0, v3
	v_add_u32_e32 v3, v1, v4
	v_lshrrev_b32_e32 v3, s21, v3
	v_mul_lo_u32 v5, v3, s19
	v_mul_hi_u32 v7, s23, v3
	v_sub_u32_e32 v1, v1, v5
	v_add_u32_e32 v5, v3, v7
	v_mul_lo_u32 v4, v0, s9
	v_mul_lo_u32 v0, v0, s8
	;; [unrolled: 1-line block ×4, first 2 shown]
	v_lshrrev_b32_e32 v5, s24, v5
	v_add3_u32 v1, v0, v40, v1
	v_add3_u32 v2, v4, v2, v7
	v_mul_lo_u32 v0, v5, s22
	v_mul_hi_u32 v4, s26, v5
	v_sub_u32_e32 v0, v3, v0
	v_add_u32_e32 v3, v5, v4
	v_mul_lo_u32 v4, v0, s12
	v_mul_lo_u32 v7, v0, s13
	v_lshrrev_b32_e32 v0, s27, v3
	s_add_i32 s7, s7, 4
	v_mul_lo_u32 v3, v0, s25
	s_add_u32 s30, s30, 32
	v_sub_u32_e32 v3, v5, v3
	s_addc_u32 s31, s31, 0
	v_mul_lo_u32 v5, v3, s14
	v_mul_lo_u32 v3, v3, s15
	s_cmp_lg_u32 s6, s7
	v_add3_u32 v2, v7, v2, v3
	v_add3_u32 v40, v4, v1, v5
	s_cbranch_scc1 .LBB11_575
; %bb.576:
	v_mov_b32_e32 v41, v2
	s_and_b32 s10, s38, 3
	s_cmp_eq_u32 s10, 0
	s_cbranch_scc0 .LBB11_580
.LBB11_577:
	s_cbranch_execz .LBB11_583
	s_branch .LBB11_585
.LBB11_578:
                                        ; implicit-def: $vgpr2
                                        ; implicit-def: $vgpr40
	s_branch .LBB11_583
.LBB11_579:
	s_mov_b32 s7, s6
	v_pk_mov_b32 v[40:41], s[6:7], s[6:7] op_sel:[0,1]
                                        ; implicit-def: $vgpr2
	v_mov_b32_e32 v0, v26
	s_and_b32 s10, s38, 3
	s_cmp_eq_u32 s10, 0
	s_cbranch_scc1 .LBB11_577
.LBB11_580:
	s_lshl_b32 s7, s6, 3
	s_add_u32 s7, s7, s34
	s_addc_u32 s9, 0, s35
	s_add_u32 s8, s7, 0xc4
	s_addc_u32 s9, s9, 0
	s_mul_i32 s6, s6, 12
	s_add_u32 s6, s34, s6
	s_addc_u32 s7, 0, s35
.LBB11_581:                             ; =>This Inner Loop Header: Depth=1
	s_load_dwordx2 s[12:13], s[6:7], 0x4
	s_load_dword s11, s[6:7], 0xc
	s_load_dwordx2 s[14:15], s[8:9], 0x0
	s_add_u32 s6, s6, 12
	s_addc_u32 s7, s7, 0
	s_waitcnt lgkmcnt(0)
	v_mul_hi_u32 v1, s13, v0
	v_add_u32_e32 v1, v0, v1
	v_lshrrev_b32_e32 v1, s11, v1
	v_mul_lo_u32 v3, v1, s12
	v_mov_b32_e32 v2, v41
	s_add_u32 s8, s8, 8
	v_sub_u32_e32 v4, v0, v3
	s_addc_u32 s9, s9, 0
	s_add_i32 s10, s10, -1
	v_mad_u64_u32 v[2:3], s[12:13], v4, s15, v[2:3]
	v_mad_u64_u32 v[40:41], s[12:13], v4, s14, v[40:41]
	s_cmp_lg_u32 s10, 0
	v_mov_b32_e32 v0, v1
	v_mov_b32_e32 v41, v2
	s_cbranch_scc1 .LBB11_581
; %bb.582:
	v_mov_b32_e32 v2, v41
	s_cbranch_execnz .LBB11_585
.LBB11_583:
	s_load_dwordx4 s[8:11], s[34:35], 0x4
	s_load_dwordx2 s[6:7], s[34:35], 0xc4
	s_cmp_lt_u32 s33, 2
	s_waitcnt lgkmcnt(0)
	v_mul_hi_u32 v0, s9, v26
	v_add_u32_e32 v0, v26, v0
	v_lshrrev_b32_e32 v0, s10, v0
	v_mul_lo_u32 v1, v0, s8
	v_sub_u32_e32 v1, v26, v1
	v_mul_lo_u32 v2, v1, s7
	v_mul_lo_u32 v40, v1, s6
	s_cbranch_scc1 .LBB11_585
; %bb.584:
	s_load_dwordx4 s[8:11], s[34:35], 0x10
	s_load_dwordx2 s[6:7], s[34:35], 0xcc
	s_waitcnt lgkmcnt(0)
	v_mul_hi_u32 v1, s9, v0
	v_add_u32_e32 v1, v0, v1
	v_lshrrev_b32_e32 v1, s10, v1
	v_mul_lo_u32 v1, v1, s8
	v_sub_u32_e32 v0, v0, v1
	v_mad_u64_u32 v[40:41], s[8:9], v0, s6, v[40:41]
	v_mad_u64_u32 v[2:3], s[6:7], v0, s7, v[2:3]
.LBB11_585:
	s_and_b64 vcc, exec, s[4:5]
	v_add_u32_e32 v0, 0x80, v26
	s_cbranch_vccnz .LBB11_592
; %bb.586:
	s_mov_b32 s6, 0
	s_cmp_lg_u32 s33, 0
	v_mov_b32_e32 v24, 0
	v_mov_b32_e32 v38, 0
	s_cbranch_scc0 .LBB11_591
; %bb.587:
	s_min_u32 s38, s76, 15
	s_add_i32 s38, s38, 1
	s_cmp_eq_u32 s76, 2
	s_cbranch_scc1 .LBB11_593
; %bb.588:
	s_add_u32 s30, s34, 0xc4
	s_addc_u32 s31, s35, 0
	s_and_b32 s6, s38, 28
	s_mov_b32 s7, 0
	v_mov_b32_e32 v38, 0
	s_mov_b64 s[36:37], s[34:35]
	v_mov_b32_e32 v1, v0
	v_mov_b32_e32 v24, 0
.LBB11_589:                             ; =>This Inner Loop Header: Depth=1
	s_load_dwordx8 s[16:23], s[36:37], 0x4
	s_load_dwordx4 s[24:27], s[36:37], 0x24
	s_load_dwordx8 s[8:15], s[30:31], 0x0
	s_add_u32 s36, s36, 48
	s_addc_u32 s37, s37, 0
	s_waitcnt lgkmcnt(0)
	v_mul_hi_u32 v3, s17, v1
	v_add_u32_e32 v3, v1, v3
	v_lshrrev_b32_e32 v3, s18, v3
	v_mul_lo_u32 v4, v3, s16
	v_mul_hi_u32 v5, s20, v3
	v_sub_u32_e32 v1, v1, v4
	v_add_u32_e32 v4, v3, v5
	v_lshrrev_b32_e32 v4, s21, v4
	v_mul_lo_u32 v7, v4, s19
	v_mul_hi_u32 v8, s23, v4
	v_sub_u32_e32 v3, v3, v7
	v_add_u32_e32 v7, v4, v8
	v_mul_lo_u32 v5, v1, s9
	v_mul_lo_u32 v1, v1, s8
	;; [unrolled: 1-line block ×4, first 2 shown]
	v_lshrrev_b32_e32 v7, s24, v7
	v_add3_u32 v3, v1, v38, v3
	v_add3_u32 v5, v5, v24, v8
	v_mul_lo_u32 v1, v7, s22
	v_mul_hi_u32 v8, s26, v7
	v_sub_u32_e32 v1, v4, v1
	v_add_u32_e32 v4, v7, v8
	v_mul_lo_u32 v8, v1, s12
	v_mul_lo_u32 v9, v1, s13
	v_lshrrev_b32_e32 v1, s27, v4
	s_add_i32 s7, s7, 4
	v_mul_lo_u32 v4, v1, s25
	s_add_u32 s30, s30, 32
	v_sub_u32_e32 v4, v7, v4
	s_addc_u32 s31, s31, 0
	v_mul_lo_u32 v7, v4, s14
	v_mul_lo_u32 v4, v4, s15
	s_cmp_lg_u32 s6, s7
	v_add3_u32 v24, v9, v5, v4
	v_add3_u32 v38, v8, v3, v7
	s_cbranch_scc1 .LBB11_589
; %bb.590:
	v_mov_b32_e32 v39, v24
	s_and_b32 s10, s38, 3
	s_cmp_eq_u32 s10, 0
	s_cbranch_scc0 .LBB11_594
.LBB11_591:
	s_cbranch_execz .LBB11_597
	s_branch .LBB11_599
.LBB11_592:
                                        ; implicit-def: $vgpr24
                                        ; implicit-def: $vgpr38
	s_branch .LBB11_597
.LBB11_593:
	s_mov_b32 s7, s6
	v_pk_mov_b32 v[38:39], s[6:7], s[6:7] op_sel:[0,1]
                                        ; implicit-def: $vgpr24
	v_mov_b32_e32 v1, v0
	s_and_b32 s10, s38, 3
	s_cmp_eq_u32 s10, 0
	s_cbranch_scc1 .LBB11_591
.LBB11_594:
	s_lshl_b32 s7, s6, 3
	s_add_u32 s7, s7, s34
	s_addc_u32 s9, 0, s35
	s_add_u32 s8, s7, 0xc4
	s_addc_u32 s9, s9, 0
	s_mul_i32 s6, s6, 12
	s_add_u32 s6, s34, s6
	s_addc_u32 s7, 0, s35
.LBB11_595:                             ; =>This Inner Loop Header: Depth=1
	s_load_dwordx2 s[12:13], s[6:7], 0x4
	s_load_dword s11, s[6:7], 0xc
	s_load_dwordx2 s[14:15], s[8:9], 0x0
	s_add_u32 s6, s6, 12
	s_addc_u32 s7, s7, 0
	s_waitcnt lgkmcnt(0)
	v_mul_hi_u32 v3, s13, v1
	v_add_u32_e32 v3, v1, v3
	v_lshrrev_b32_e32 v3, s11, v3
	v_mul_lo_u32 v5, v3, s12
	v_mov_b32_e32 v4, v39
	s_add_u32 s8, s8, 8
	v_sub_u32_e32 v7, v1, v5
	s_addc_u32 s9, s9, 0
	s_add_i32 s10, s10, -1
	v_mad_u64_u32 v[4:5], s[12:13], v7, s15, v[4:5]
	v_mad_u64_u32 v[38:39], s[12:13], v7, s14, v[38:39]
	s_cmp_lg_u32 s10, 0
	v_mov_b32_e32 v1, v3
	v_mov_b32_e32 v39, v4
	s_cbranch_scc1 .LBB11_595
; %bb.596:
	v_mov_b32_e32 v24, v39
	s_cbranch_execnz .LBB11_599
.LBB11_597:
	s_load_dwordx4 s[8:11], s[34:35], 0x4
	s_load_dwordx2 s[6:7], s[34:35], 0xc4
	s_cmp_lt_u32 s33, 2
	s_waitcnt lgkmcnt(0)
	v_mul_hi_u32 v1, s9, v0
	v_add_u32_e32 v1, v0, v1
	v_lshrrev_b32_e32 v1, s10, v1
	v_mul_lo_u32 v3, v1, s8
	v_sub_u32_e32 v0, v0, v3
	v_mul_lo_u32 v24, v0, s7
	v_mul_lo_u32 v38, v0, s6
	s_cbranch_scc1 .LBB11_599
; %bb.598:
	s_load_dwordx4 s[8:11], s[34:35], 0x10
	s_load_dwordx2 s[6:7], s[34:35], 0xcc
	s_waitcnt lgkmcnt(0)
	v_mul_hi_u32 v0, s9, v1
	v_add_u32_e32 v0, v1, v0
	v_lshrrev_b32_e32 v0, s10, v0
	v_mul_lo_u32 v0, v0, s8
	v_sub_u32_e32 v0, v1, v0
	v_mad_u64_u32 v[38:39], s[8:9], v0, s6, v[38:39]
	v_mad_u64_u32 v[24:25], s[6:7], v0, s7, v[24:25]
.LBB11_599:
	s_and_b64 vcc, exec, s[4:5]
	v_add_u32_e32 v0, 0x100, v26
	s_cbranch_vccnz .LBB11_606
; %bb.600:
	s_mov_b32 s6, 0
	s_cmp_lg_u32 s33, 0
	v_mov_b32_e32 v30, 0
	v_mov_b32_e32 v36, 0
	s_cbranch_scc0 .LBB11_605
; %bb.601:
	s_min_u32 s38, s76, 15
	s_add_i32 s38, s38, 1
	s_cmp_eq_u32 s76, 2
	s_cbranch_scc1 .LBB11_607
; %bb.602:
	s_add_u32 s30, s34, 0xc4
	s_addc_u32 s31, s35, 0
	s_and_b32 s6, s38, 28
	s_mov_b32 s7, 0
	v_mov_b32_e32 v36, 0
	s_mov_b64 s[36:37], s[34:35]
	v_mov_b32_e32 v1, v0
	v_mov_b32_e32 v30, 0
.LBB11_603:                             ; =>This Inner Loop Header: Depth=1
	s_load_dwordx8 s[16:23], s[36:37], 0x4
	s_load_dwordx4 s[24:27], s[36:37], 0x24
	s_load_dwordx8 s[8:15], s[30:31], 0x0
	s_add_u32 s36, s36, 48
	s_addc_u32 s37, s37, 0
	s_waitcnt lgkmcnt(0)
	v_mul_hi_u32 v3, s17, v1
	v_add_u32_e32 v3, v1, v3
	v_lshrrev_b32_e32 v3, s18, v3
	v_mul_lo_u32 v4, v3, s16
	v_mul_hi_u32 v5, s20, v3
	v_sub_u32_e32 v1, v1, v4
	v_add_u32_e32 v4, v3, v5
	v_lshrrev_b32_e32 v4, s21, v4
	v_mul_lo_u32 v7, v4, s19
	v_mul_hi_u32 v8, s23, v4
	v_sub_u32_e32 v3, v3, v7
	v_add_u32_e32 v7, v4, v8
	v_mul_lo_u32 v5, v1, s9
	v_mul_lo_u32 v1, v1, s8
	;; [unrolled: 1-line block ×4, first 2 shown]
	v_lshrrev_b32_e32 v7, s24, v7
	v_add3_u32 v3, v1, v36, v3
	v_add3_u32 v5, v5, v30, v8
	v_mul_lo_u32 v1, v7, s22
	v_mul_hi_u32 v8, s26, v7
	v_sub_u32_e32 v1, v4, v1
	v_add_u32_e32 v4, v7, v8
	v_mul_lo_u32 v8, v1, s12
	v_mul_lo_u32 v9, v1, s13
	v_lshrrev_b32_e32 v1, s27, v4
	s_add_i32 s7, s7, 4
	v_mul_lo_u32 v4, v1, s25
	s_add_u32 s30, s30, 32
	v_sub_u32_e32 v4, v7, v4
	s_addc_u32 s31, s31, 0
	v_mul_lo_u32 v7, v4, s14
	v_mul_lo_u32 v4, v4, s15
	s_cmp_lg_u32 s6, s7
	v_add3_u32 v30, v9, v5, v4
	v_add3_u32 v36, v8, v3, v7
	s_cbranch_scc1 .LBB11_603
; %bb.604:
	v_mov_b32_e32 v37, v30
	s_and_b32 s10, s38, 3
	s_cmp_eq_u32 s10, 0
	s_cbranch_scc0 .LBB11_608
.LBB11_605:
	s_cbranch_execz .LBB11_611
	s_branch .LBB11_613
.LBB11_606:
                                        ; implicit-def: $vgpr30
                                        ; implicit-def: $vgpr36
	s_branch .LBB11_611
.LBB11_607:
	s_mov_b32 s7, s6
	v_pk_mov_b32 v[36:37], s[6:7], s[6:7] op_sel:[0,1]
                                        ; implicit-def: $vgpr30
	v_mov_b32_e32 v1, v0
	s_and_b32 s10, s38, 3
	s_cmp_eq_u32 s10, 0
	s_cbranch_scc1 .LBB11_605
.LBB11_608:
	s_lshl_b32 s7, s6, 3
	s_add_u32 s7, s7, s34
	s_addc_u32 s9, 0, s35
	s_add_u32 s8, s7, 0xc4
	s_addc_u32 s9, s9, 0
	s_mul_i32 s6, s6, 12
	s_add_u32 s6, s34, s6
	s_addc_u32 s7, 0, s35
.LBB11_609:                             ; =>This Inner Loop Header: Depth=1
	s_load_dwordx2 s[12:13], s[6:7], 0x4
	s_load_dword s11, s[6:7], 0xc
	s_load_dwordx2 s[14:15], s[8:9], 0x0
	s_add_u32 s6, s6, 12
	s_addc_u32 s7, s7, 0
	s_waitcnt lgkmcnt(0)
	v_mul_hi_u32 v3, s13, v1
	v_add_u32_e32 v3, v1, v3
	v_lshrrev_b32_e32 v3, s11, v3
	v_mul_lo_u32 v5, v3, s12
	v_mov_b32_e32 v4, v37
	s_add_u32 s8, s8, 8
	v_sub_u32_e32 v7, v1, v5
	s_addc_u32 s9, s9, 0
	s_add_i32 s10, s10, -1
	v_mad_u64_u32 v[4:5], s[12:13], v7, s15, v[4:5]
	v_mad_u64_u32 v[36:37], s[12:13], v7, s14, v[36:37]
	s_cmp_lg_u32 s10, 0
	v_mov_b32_e32 v1, v3
	v_mov_b32_e32 v37, v4
	s_cbranch_scc1 .LBB11_609
; %bb.610:
	v_mov_b32_e32 v30, v37
	s_cbranch_execnz .LBB11_613
.LBB11_611:
	s_load_dwordx4 s[8:11], s[34:35], 0x4
	s_load_dwordx2 s[6:7], s[34:35], 0xc4
	s_cmp_lt_u32 s33, 2
	s_waitcnt lgkmcnt(0)
	v_mul_hi_u32 v1, s9, v0
	v_add_u32_e32 v1, v0, v1
	v_lshrrev_b32_e32 v1, s10, v1
	v_mul_lo_u32 v3, v1, s8
	v_sub_u32_e32 v0, v0, v3
	v_mul_lo_u32 v30, v0, s7
	v_mul_lo_u32 v36, v0, s6
	s_cbranch_scc1 .LBB11_613
; %bb.612:
	s_load_dwordx4 s[8:11], s[34:35], 0x10
	s_load_dwordx2 s[6:7], s[34:35], 0xcc
	s_waitcnt lgkmcnt(0)
	v_mul_hi_u32 v0, s9, v1
	v_add_u32_e32 v0, v1, v0
	v_lshrrev_b32_e32 v0, s10, v0
	v_mul_lo_u32 v0, v0, s8
	v_sub_u32_e32 v0, v1, v0
	v_mad_u64_u32 v[36:37], s[8:9], v0, s6, v[36:37]
	v_mad_u64_u32 v[30:31], s[6:7], v0, s7, v[30:31]
.LBB11_613:
	s_and_b64 vcc, exec, s[4:5]
	s_cbranch_vccnz .LBB11_620
; %bb.614:
	s_mov_b32 s24, 0
	s_cmp_lg_u32 s33, 0
	v_mov_b32_e32 v32, 0
	v_mov_b32_e32 v34, 0
	s_cbranch_scc0 .LBB11_619
; %bb.615:
	s_min_u32 s36, s76, 15
	s_add_i32 s36, s36, 1
	s_cmp_eq_u32 s76, 2
	s_cbranch_scc1 .LBB11_621
; %bb.616:
	s_add_u32 s26, s34, 0xc4
	s_addc_u32 s27, s35, 0
	s_and_b32 s24, s36, 28
	s_mov_b32 s25, 0
	v_mov_b32_e32 v34, 0
	s_mov_b64 s[30:31], s[34:35]
	v_mov_b32_e32 v0, v6
	v_mov_b32_e32 v32, 0
.LBB11_617:                             ; =>This Inner Loop Header: Depth=1
	s_load_dwordx8 s[12:19], s[30:31], 0x4
	s_load_dwordx4 s[20:23], s[30:31], 0x24
	s_load_dwordx8 s[4:11], s[26:27], 0x0
	s_add_u32 s30, s30, 48
	s_addc_u32 s31, s31, 0
	s_waitcnt lgkmcnt(0)
	v_mul_hi_u32 v1, s13, v0
	v_add_u32_e32 v1, v0, v1
	v_lshrrev_b32_e32 v1, s14, v1
	v_mul_lo_u32 v3, v1, s12
	v_mul_hi_u32 v4, s16, v1
	v_sub_u32_e32 v0, v0, v3
	v_add_u32_e32 v3, v1, v4
	v_lshrrev_b32_e32 v3, s17, v3
	v_mul_lo_u32 v5, v3, s15
	v_mul_hi_u32 v7, s19, v3
	v_sub_u32_e32 v1, v1, v5
	v_add_u32_e32 v5, v3, v7
	v_mul_lo_u32 v4, v0, s5
	v_mul_lo_u32 v0, v0, s4
	;; [unrolled: 1-line block ×4, first 2 shown]
	v_lshrrev_b32_e32 v5, s20, v5
	v_add3_u32 v1, v0, v34, v1
	v_add3_u32 v4, v4, v32, v7
	v_mul_lo_u32 v0, v5, s18
	v_mul_hi_u32 v7, s22, v5
	v_sub_u32_e32 v0, v3, v0
	v_add_u32_e32 v3, v5, v7
	v_mul_lo_u32 v7, v0, s8
	v_mul_lo_u32 v8, v0, s9
	v_lshrrev_b32_e32 v0, s23, v3
	s_add_i32 s25, s25, 4
	v_mul_lo_u32 v3, v0, s21
	s_add_u32 s26, s26, 32
	v_sub_u32_e32 v3, v5, v3
	s_addc_u32 s27, s27, 0
	v_mul_lo_u32 v5, v3, s10
	v_mul_lo_u32 v3, v3, s11
	s_cmp_lg_u32 s24, s25
	v_add3_u32 v32, v8, v4, v3
	v_add3_u32 v34, v7, v1, v5
	s_cbranch_scc1 .LBB11_617
; %bb.618:
	v_mov_b32_e32 v35, v32
	s_and_b32 s8, s36, 3
	s_cmp_eq_u32 s8, 0
	s_cbranch_scc0 .LBB11_622
.LBB11_619:
	s_cbranch_execz .LBB11_625
	s_branch .LBB11_627
.LBB11_620:
                                        ; implicit-def: $vgpr32
                                        ; implicit-def: $vgpr34
	s_branch .LBB11_625
.LBB11_621:
	s_mov_b32 s25, s24
	v_pk_mov_b32 v[34:35], s[24:25], s[24:25] op_sel:[0,1]
                                        ; implicit-def: $vgpr32
	v_mov_b32_e32 v0, v6
	s_and_b32 s8, s36, 3
	s_cmp_eq_u32 s8, 0
	s_cbranch_scc1 .LBB11_619
.LBB11_622:
	s_lshl_b32 s4, s24, 3
	s_add_u32 s4, s4, s34
	s_addc_u32 s5, 0, s35
	s_add_u32 s4, s4, 0xc4
	s_addc_u32 s5, s5, 0
	s_mul_i32 s6, s24, 12
	s_add_u32 s6, s34, s6
	s_addc_u32 s7, 0, s35
.LBB11_623:                             ; =>This Inner Loop Header: Depth=1
	s_load_dwordx2 s[10:11], s[6:7], 0x4
	s_load_dword s9, s[6:7], 0xc
	s_load_dwordx2 s[12:13], s[4:5], 0x0
	s_add_u32 s6, s6, 12
	s_addc_u32 s7, s7, 0
	s_waitcnt lgkmcnt(0)
	v_mul_hi_u32 v1, s11, v0
	v_add_u32_e32 v1, v0, v1
	v_lshrrev_b32_e32 v1, s9, v1
	v_mul_lo_u32 v3, v1, s10
	v_mov_b32_e32 v4, v35
	s_add_u32 s4, s4, 8
	v_sub_u32_e32 v3, v0, v3
	s_addc_u32 s5, s5, 0
	s_add_i32 s8, s8, -1
	v_mad_u64_u32 v[4:5], s[10:11], v3, s13, v[4:5]
	v_mad_u64_u32 v[34:35], s[10:11], v3, s12, v[34:35]
	s_cmp_lg_u32 s8, 0
	v_mov_b32_e32 v0, v1
	v_mov_b32_e32 v35, v4
	s_cbranch_scc1 .LBB11_623
; %bb.624:
	v_mov_b32_e32 v32, v35
	s_cbranch_execnz .LBB11_627
.LBB11_625:
	s_load_dwordx4 s[4:7], s[34:35], 0x4
	s_load_dwordx2 s[8:9], s[34:35], 0xc4
	s_cmp_lt_u32 s33, 2
	s_waitcnt lgkmcnt(0)
	v_mul_hi_u32 v0, s5, v6
	v_add_u32_e32 v0, v6, v0
	v_lshrrev_b32_e32 v0, s6, v0
	v_mul_lo_u32 v1, v0, s4
	v_sub_u32_e32 v1, v6, v1
	v_mul_lo_u32 v32, v1, s9
	v_mul_lo_u32 v34, v1, s8
	s_cbranch_scc1 .LBB11_627
; %bb.626:
	s_load_dwordx4 s[4:7], s[34:35], 0x10
	s_load_dwordx2 s[8:9], s[34:35], 0xcc
	s_waitcnt lgkmcnt(0)
	v_mul_hi_u32 v1, s5, v0
	v_add_u32_e32 v1, v0, v1
	v_lshrrev_b32_e32 v1, s6, v1
	v_mul_lo_u32 v1, v1, s4
	v_sub_u32_e32 v0, v0, v1
	v_mad_u64_u32 v[34:35], s[4:5], v0, s8, v[34:35]
	v_mad_u64_u32 v[32:33], s[4:5], v0, s9, v[32:33]
.LBB11_627:
	s_load_dword s33, s[28:29], 0x160
	s_load_dwordx4 s[36:39], s[34:35], 0x148
	s_getpc_b64 s[28:29]
	s_add_u32 s28, s28, _ZN2at6native6invokeIZZZNS0_12_GLOBAL__N_137scaled_modified_bessel_k0_kernel_cudaERNS_18TensorIteratorBaseEENKUlvE_clEvENKUlvE_clEvEUldE_j15function_traitsIS7_EEENT1_11result_typeERKT_PrKPcPKT0_PKN3c1010ScalarTypeEi@rel32@lo+4
	s_addc_u32 s29, s29, _ZN2at6native6invokeIZZZNS0_12_GLOBAL__N_137scaled_modified_bessel_k0_kernel_cudaERNS_18TensorIteratorBaseEENKUlvE_clEvENKUlvE_clEvEUldE_j15function_traitsIS7_EEENT1_11result_typeERKT_PrKPcPKT0_PKN3c1010ScalarTypeEi@rel32@hi+12
	s_waitcnt lgkmcnt(0)
	s_lshr_b32 s34, s33, 16
	v_mov_b32_e32 v0, s38
	v_mov_b32_e32 v1, s39
	v_mov_b32_e32 v3, s34
	s_swappc_b64 s[30:31], s[28:29]
	v_mov_b32_e32 v28, v0
	v_mov_b32_e32 v29, v1
	v_mov_b32_e32 v0, s38
	v_mov_b32_e32 v1, s39
	v_mov_b32_e32 v2, v24
	v_mov_b32_e32 v3, s34
	s_swappc_b64 s[30:31], s[28:29]
	v_mov_b32_e32 v26, v0
	v_mov_b32_e32 v27, v1
	v_mov_b32_e32 v0, s38
	;; [unrolled: 7-line block ×3, first 2 shown]
	v_mov_b32_e32 v1, s39
	v_mov_b32_e32 v2, v32
	;; [unrolled: 1-line block ×3, first 2 shown]
	s_swappc_b64 s[30:31], s[28:29]
	v_mov_b32_e32 v3, s37
	v_add_co_u32_e32 v2, vcc, s36, v40
	s_lshr_b32 s16, s33, 8
	v_mov_b32_e32 v4, 11
	v_addc_co_u32_e32 v3, vcc, 0, v3, vcc
	v_cmp_lt_i16_sdwa s[4:5], s16, v4 src0_sel:BYTE_0 src1_sel:DWORD
	s_and_b64 vcc, exec, s[4:5]
	s_cbranch_vccnz .LBB11_634
; %bb.628:
	v_mov_b32_e32 v4, 25
	v_cmp_gt_i16_sdwa s[4:5], s16, v4 src0_sel:BYTE_0 src1_sel:DWORD
	s_mov_b64 s[6:7], -1
	s_mov_b64 s[8:9], 0
	s_and_b64 vcc, exec, s[4:5]
	s_mov_b64 s[10:11], 0
	s_mov_b64 s[4:5], 0
	s_cbranch_vccz .LBB11_664
; %bb.629:
	v_mov_b32_e32 v4, 28
	v_cmp_gt_i16_sdwa s[4:5], s16, v4 src0_sel:BYTE_0 src1_sel:DWORD
	s_and_b64 vcc, exec, s[4:5]
	s_cbranch_vccz .LBB11_636
; %bb.630:
	v_mov_b32_e32 v4, 43
	v_cmp_gt_i16_sdwa s[4:5], s16, v4 src0_sel:BYTE_0 src1_sel:DWORD
	s_and_b64 vcc, exec, s[4:5]
	;; [unrolled: 5-line block ×3, first 2 shown]
	s_cbranch_vccz .LBB11_638
; %bb.632:
	v_mov_b32_e32 v4, 46
	v_cmp_eq_u16_sdwa s[10:11], s16, v4 src0_sel:BYTE_0 src1_sel:DWORD
	s_mov_b64 s[4:5], -1
	s_mov_b64 s[6:7], 0
	s_and_b64 vcc, exec, s[10:11]
	s_mov_b64 s[10:11], 0
	s_cbranch_vccz .LBB11_639
; %bb.633:
	v_cvt_f32_f64_e32 v4, v[28:29]
	v_bfe_u32 v5, v4, 16, 1
	s_movk_i32 s4, 0x7fff
	v_add3_u32 v5, v4, v5, s4
	v_lshrrev_b32_e32 v5, 16, v5
	v_mov_b32_e32 v6, 0x7fc0
	v_cmp_o_f32_e32 vcc, v4, v4
	v_cndmask_b32_e32 v4, v6, v5, vcc
	global_store_dword v[2:3], v4, off
	s_mov_b64 s[4:5], 0
	s_mov_b64 s[10:11], -1
	s_branch .LBB11_639
.LBB11_634:
	s_mov_b64 s[10:11], 0
	s_mov_b64 s[6:7], s[40:41]
	s_cbranch_execnz .LBB11_708
.LBB11_635:
	s_andn2_b64 vcc, exec, s[10:11]
	s_cbranch_vccz .LBB11_746
	s_branch .LBB11_1075
.LBB11_636:
	s_mov_b64 s[4:5], 0
	s_and_b64 vcc, exec, s[6:7]
	s_cbranch_vccz .LBB11_663
	s_branch .LBB11_648
.LBB11_637:
	s_mov_b64 s[4:5], 0
	s_and_b64 vcc, exec, s[6:7]
	s_cbranch_vccnz .LBB11_645
	s_branch .LBB11_647
.LBB11_638:
	s_mov_b64 s[4:5], 0
.LBB11_639:
	s_and_b64 vcc, exec, s[6:7]
	s_cbranch_vccz .LBB11_644
; %bb.640:
	v_mov_b32_e32 v4, 44
	v_cmp_eq_u16_sdwa s[6:7], s16, v4 src0_sel:BYTE_0 src1_sel:DWORD
	s_mov_b64 s[4:5], -1
	s_and_b64 vcc, exec, s[6:7]
	s_cbranch_vccz .LBB11_644
; %bb.641:
	v_cvt_f32_f64_e32 v4, v[28:29]
	v_bfe_u32 v5, v4, 23, 8
	s_movk_i32 s4, 0xff
	v_cmp_ne_u32_e32 vcc, s4, v5
	v_mov_b32_e32 v6, 0xff
	s_and_saveexec_b64 s[6:7], vcc
; %bb.642:
	s_mov_b32 s4, 0x3fffff
	v_lshrrev_b32_e32 v6, 23, v4
	v_and_b32_e32 v7, 0x400000, v4
	v_and_or_b32 v4, v4, s4, v5
	v_cmp_ne_u32_e32 vcc, 0, v7
	v_cmp_ne_u32_e64 s[4:5], 0, v4
	s_and_b64 s[4:5], vcc, s[4:5]
	v_cndmask_b32_e64 v4, 0, 1, s[4:5]
	v_add_u32_e32 v6, v6, v4
; %bb.643:
	s_or_b64 exec, exec, s[6:7]
	s_mov_b64 s[4:5], 0
	s_mov_b64 s[10:11], -1
	global_store_byte v[2:3], v6, off
.LBB11_644:
	s_branch .LBB11_647
.LBB11_645:
	v_mov_b32_e32 v4, 29
	v_cmp_eq_u16_sdwa s[6:7], s16, v4 src0_sel:BYTE_0 src1_sel:DWORD
	s_mov_b64 s[4:5], -1
	s_and_b64 vcc, exec, s[6:7]
	s_cbranch_vccz .LBB11_647
; %bb.646:
	v_trunc_f64_e32 v[4:5], v[28:29]
	s_movk_i32 s4, 0xffe0
	v_ldexp_f64 v[6:7], v[4:5], s4
	v_floor_f64_e32 v[6:7], v[6:7]
	v_fmac_f64_e32 v[4:5], 0xc1f00000, v[6:7]
	v_cvt_u32_f64_e32 v9, v[6:7]
	v_cvt_u32_f64_e32 v8, v[4:5]
	global_store_dwordx2 v[2:3], v[8:9], off
	s_mov_b64 s[4:5], 0
	s_mov_b64 s[10:11], -1
.LBB11_647:
	s_branch .LBB11_663
.LBB11_648:
	v_mov_b32_e32 v4, 27
	v_cmp_lt_i16_sdwa s[10:11], s16, v4 src0_sel:BYTE_0 src1_sel:DWORD
	s_mov_b64 s[6:7], -1
	s_and_b64 vcc, exec, s[10:11]
	s_cbranch_vccnz .LBB11_654
; %bb.649:
	v_cmp_gt_i16_sdwa s[10:11], s16, v4 src0_sel:BYTE_0 src1_sel:DWORD
	s_and_b64 vcc, exec, s[10:11]
	s_cbranch_vccz .LBB11_651
; %bb.650:
	v_cvt_u32_f64_e32 v4, v[28:29]
	s_mov_b64 s[6:7], 0
	global_store_dword v[2:3], v4, off
.LBB11_651:
	s_andn2_b64 vcc, exec, s[6:7]
	s_cbranch_vccnz .LBB11_653
; %bb.652:
	v_cvt_u32_f64_e32 v4, v[28:29]
	global_store_short v[2:3], v4, off
.LBB11_653:
	s_mov_b64 s[6:7], 0
.LBB11_654:
	s_andn2_b64 vcc, exec, s[6:7]
	s_cbranch_vccnz .LBB11_662
; %bb.655:
	v_cvt_f32_f64_e32 v4, v[28:29]
	v_and_b32_e32 v5, 0x7fffffff, v4
	s_mov_b32 s6, 0x43800000
	v_cmp_gt_u32_e32 vcc, s6, v5
	v_mov_b32_e32 v6, 0x80
	s_and_saveexec_b64 s[6:7], vcc
	s_cbranch_execz .LBB11_661
; %bb.656:
	s_mov_b32 s10, 0x3bffffff
	v_cmp_lt_u32_e32 vcc, s10, v5
	s_mov_b64 s[10:11], 0
                                        ; implicit-def: $vgpr5
	s_and_saveexec_b64 s[12:13], vcc
	s_xor_b64 s[12:13], exec, s[12:13]
	s_cbranch_execz .LBB11_756
; %bb.657:
	v_bfe_u32 v5, v4, 20, 1
	s_mov_b32 s14, 0x487ffff
	v_add3_u32 v5, v4, v5, s14
	s_mov_b64 s[10:11], exec
	v_lshrrev_b32_e32 v5, 20, v5
	s_or_saveexec_b64 s[12:13], s[12:13]
                                        ; implicit-def: $sgpr14
	s_xor_b64 exec, exec, s[12:13]
	s_cbranch_execnz .LBB11_757
.LBB11_658:
	s_or_b64 exec, exec, s[12:13]
	v_mov_b32_e32 v6, s14
	s_and_saveexec_b64 s[12:13], s[10:11]
.LBB11_659:
	v_lshrrev_b32_e32 v4, 24, v4
	s_movk_i32 s10, 0x80
	v_and_or_b32 v6, v4, s10, v5
.LBB11_660:
	s_or_b64 exec, exec, s[12:13]
.LBB11_661:
	s_or_b64 exec, exec, s[6:7]
	global_store_byte v[2:3], v6, off
.LBB11_662:
	s_mov_b64 s[10:11], -1
.LBB11_663:
	s_mov_b64 s[6:7], 0
.LBB11_664:
	s_and_b64 vcc, exec, s[6:7]
	s_cbranch_vccz .LBB11_704
; %bb.665:
	v_mov_b32_e32 v4, 22
	v_cmp_gt_i16_sdwa s[8:9], s16, v4 src0_sel:BYTE_0 src1_sel:DWORD
	s_mov_b64 s[6:7], -1
	s_and_b64 vcc, exec, s[8:9]
	s_cbranch_vccz .LBB11_697
; %bb.666:
	v_mov_b32_e32 v4, 24
	v_cmp_lt_i16_sdwa s[8:9], s16, v4 src0_sel:BYTE_0 src1_sel:DWORD
	s_and_b64 vcc, exec, s[8:9]
	s_cbranch_vccnz .LBB11_686
; %bb.667:
	v_cmp_gt_i16_sdwa s[8:9], s16, v4 src0_sel:BYTE_0 src1_sel:DWORD
	s_and_b64 vcc, exec, s[8:9]
	s_cbranch_vccz .LBB11_675
; %bb.668:
	v_cvt_f32_f64_e32 v4, v[28:29]
	v_and_b32_e32 v5, 0x7fffffff, v4
	s_mov_b32 s6, 0x47800000
	v_cmp_gt_u32_e32 vcc, s6, v5
	v_mov_b32_e32 v6, 0x80
	s_and_saveexec_b64 s[6:7], vcc
	s_cbranch_execz .LBB11_674
; %bb.669:
	s_mov_b32 s8, 0x37ffffff
	v_cmp_lt_u32_e32 vcc, s8, v5
	s_mov_b64 s[8:9], 0
                                        ; implicit-def: $vgpr5
	s_and_saveexec_b64 s[10:11], vcc
	s_xor_b64 s[10:11], exec, s[10:11]
	s_cbranch_execz .LBB11_760
; %bb.670:
	v_bfe_u32 v5, v4, 21, 1
	s_mov_b32 s12, 0x88fffff
	v_add3_u32 v5, v4, v5, s12
	s_mov_b64 s[8:9], exec
	v_lshrrev_b32_e32 v5, 21, v5
	s_or_saveexec_b64 s[10:11], s[10:11]
                                        ; implicit-def: $sgpr12
	s_xor_b64 exec, exec, s[10:11]
	s_cbranch_execnz .LBB11_761
.LBB11_671:
	s_or_b64 exec, exec, s[10:11]
	v_mov_b32_e32 v6, s12
	s_and_saveexec_b64 s[10:11], s[8:9]
.LBB11_672:
	v_lshrrev_b32_e32 v4, 24, v4
	s_movk_i32 s8, 0x80
	v_and_or_b32 v6, v4, s8, v5
.LBB11_673:
	s_or_b64 exec, exec, s[10:11]
.LBB11_674:
	s_or_b64 exec, exec, s[6:7]
	s_mov_b64 s[6:7], 0
	global_store_byte v[2:3], v6, off
.LBB11_675:
	s_and_b64 vcc, exec, s[6:7]
	s_cbranch_vccz .LBB11_685
; %bb.676:
	v_cvt_f32_f64_e32 v4, v[28:29]
	v_and_b32_e32 v6, 0x7fffffff, v4
	s_mov_b32 s6, 0x43f00000
	v_cmp_gt_u32_e32 vcc, s6, v6
                                        ; implicit-def: $vgpr5
	s_and_saveexec_b64 s[6:7], vcc
	s_xor_b64 s[6:7], exec, s[6:7]
	s_cbranch_execz .LBB11_682
; %bb.677:
	s_mov_b32 s8, 0x3c7fffff
	v_cmp_lt_u32_e32 vcc, s8, v6
                                        ; implicit-def: $vgpr5
	s_and_saveexec_b64 s[8:9], vcc
	s_xor_b64 s[8:9], exec, s[8:9]
; %bb.678:
	v_bfe_u32 v5, v4, 20, 1
	s_mov_b32 s10, 0x407ffff
	v_add3_u32 v5, v4, v5, s10
	v_lshrrev_b32_e32 v6, 20, v5
	v_and_b32_e32 v5, 0xff00000, v5
	s_mov_b32 s10, 0x7f00000
	v_mov_b32_e32 v7, 0x7e
	v_cmp_ne_u32_e32 vcc, s10, v5
	v_cndmask_b32_e32 v5, v7, v6, vcc
; %bb.679:
	s_andn2_saveexec_b64 s[8:9], s[8:9]
; %bb.680:
	s_mov_b32 s10, 0x46800000
	v_add_f32_e64 v5, |v4|, s10
; %bb.681:
	s_or_b64 exec, exec, s[8:9]
                                        ; implicit-def: $vgpr6
.LBB11_682:
	s_andn2_saveexec_b64 s[6:7], s[6:7]
; %bb.683:
	s_mov_b32 s8, 0x7f800000
	v_mov_b32_e32 v5, 0x7e
	v_mov_b32_e32 v7, 0x7f
	v_cmp_lt_u32_e32 vcc, s8, v6
	v_cndmask_b32_e32 v5, v5, v7, vcc
; %bb.684:
	s_or_b64 exec, exec, s[6:7]
	v_lshrrev_b32_e32 v4, 24, v4
	s_movk_i32 s6, 0x80
	v_and_or_b32 v4, v4, s6, v5
	global_store_byte v[2:3], v4, off
.LBB11_685:
	s_mov_b64 s[6:7], 0
.LBB11_686:
	s_andn2_b64 vcc, exec, s[6:7]
	s_cbranch_vccnz .LBB11_696
; %bb.687:
	v_cvt_f32_f64_e32 v4, v[28:29]
	v_and_b32_e32 v6, 0x7fffffff, v4
	s_mov_b32 s6, 0x47800000
	v_cmp_gt_u32_e32 vcc, s6, v6
                                        ; implicit-def: $vgpr5
	s_and_saveexec_b64 s[6:7], vcc
	s_xor_b64 s[6:7], exec, s[6:7]
	s_cbranch_execz .LBB11_693
; %bb.688:
	s_mov_b32 s8, 0x387fffff
	v_cmp_lt_u32_e32 vcc, s8, v6
                                        ; implicit-def: $vgpr5
	s_and_saveexec_b64 s[8:9], vcc
	s_xor_b64 s[8:9], exec, s[8:9]
; %bb.689:
	v_bfe_u32 v5, v4, 21, 1
	s_mov_b32 s10, 0x80fffff
	v_add3_u32 v5, v4, v5, s10
	v_lshrrev_b32_e32 v5, 21, v5
; %bb.690:
	s_andn2_saveexec_b64 s[8:9], s[8:9]
; %bb.691:
	s_mov_b32 s10, 0x43000000
	v_add_f32_e64 v5, |v4|, s10
; %bb.692:
	s_or_b64 exec, exec, s[8:9]
                                        ; implicit-def: $vgpr6
.LBB11_693:
	s_andn2_saveexec_b64 s[6:7], s[6:7]
; %bb.694:
	s_mov_b32 s8, 0x7f800000
	v_mov_b32_e32 v5, 0x7c
	v_mov_b32_e32 v7, 0x7f
	v_cmp_lt_u32_e32 vcc, s8, v6
	v_cndmask_b32_e32 v5, v5, v7, vcc
; %bb.695:
	s_or_b64 exec, exec, s[6:7]
	v_lshrrev_b32_e32 v4, 24, v4
	s_movk_i32 s6, 0x80
	v_and_or_b32 v4, v4, s6, v5
	global_store_byte v[2:3], v4, off
.LBB11_696:
	s_mov_b64 s[6:7], 0
	s_mov_b64 s[10:11], -1
.LBB11_697:
	s_andn2_b64 vcc, exec, s[6:7]
	s_mov_b64 s[8:9], 0
	s_cbranch_vccnz .LBB11_704
; %bb.698:
	v_mov_b32_e32 v4, 14
	v_cmp_gt_i16_sdwa s[8:9], s16, v4 src0_sel:BYTE_0 src1_sel:DWORD
	s_mov_b64 s[6:7], -1
	s_and_b64 vcc, exec, s[8:9]
	s_cbranch_vccz .LBB11_702
; %bb.699:
	v_mov_b32_e32 v4, 15
	v_cmp_eq_u16_sdwa s[6:7], s16, v4 src0_sel:BYTE_0 src1_sel:DWORD
	s_mov_b64 s[4:5], -1
	s_and_b64 vcc, exec, s[6:7]
	s_cbranch_vccz .LBB11_701
; %bb.700:
	v_cvt_f32_f64_e32 v4, v[28:29]
	v_bfe_u32 v5, v4, 16, 1
	s_movk_i32 s4, 0x7fff
	v_add3_u32 v5, v4, v5, s4
	v_lshrrev_b32_e32 v5, 16, v5
	v_mov_b32_e32 v6, 0x7fc0
	v_cmp_o_f32_e32 vcc, v4, v4
	v_cndmask_b32_e32 v4, v6, v5, vcc
	global_store_short v[2:3], v4, off
	s_mov_b64 s[4:5], 0
	s_mov_b64 s[10:11], -1
.LBB11_701:
	s_mov_b64 s[6:7], 0
.LBB11_702:
	s_mov_b64 s[8:9], 0
	s_and_b64 vcc, exec, s[6:7]
	s_cbranch_vccz .LBB11_704
; %bb.703:
	v_mov_b32_e32 v4, 11
	v_cmp_ne_u16_sdwa s[4:5], s16, v4 src0_sel:BYTE_0 src1_sel:DWORD
	s_mov_b64 s[8:9], -1
.LBB11_704:
	s_and_b64 vcc, exec, s[4:5]
	s_mov_b64 s[6:7], s[40:41]
	s_cbranch_vccnz .LBB11_759
; %bb.705:
	s_andn2_b64 vcc, exec, s[8:9]
	s_cbranch_vccnz .LBB11_707
.LBB11_706:
	v_cmp_neq_f64_e32 vcc, 0, v[28:29]
	v_cndmask_b32_e64 v4, 0, 1, vcc
	global_store_byte v[2:3], v4, off
	s_mov_b64 s[10:11], -1
.LBB11_707:
	s_branch .LBB11_635
.LBB11_708:
	v_mov_b32_e32 v4, 5
	v_cmp_lt_i16_sdwa s[8:9], s16, v4 src0_sel:BYTE_0 src1_sel:DWORD
	s_mov_b64 s[4:5], -1
	s_and_b64 vcc, exec, s[8:9]
	s_cbranch_vccnz .LBB11_729
; %bb.709:
	v_mov_b32_e32 v4, 8
	v_cmp_lt_i16_sdwa s[8:9], s16, v4 src0_sel:BYTE_0 src1_sel:DWORD
	s_and_b64 vcc, exec, s[8:9]
	s_cbranch_vccnz .LBB11_719
; %bb.710:
	v_mov_b32_e32 v4, 9
	v_cmp_lt_i16_sdwa s[8:9], s16, v4 src0_sel:BYTE_0 src1_sel:DWORD
	s_and_b64 vcc, exec, s[8:9]
	s_cbranch_vccnz .LBB11_716
; %bb.711:
	v_cmp_gt_i16_sdwa s[8:9], s16, v4 src0_sel:BYTE_0 src1_sel:DWORD
	s_and_b64 vcc, exec, s[8:9]
	s_cbranch_vccz .LBB11_713
; %bb.712:
	v_mov_b32_e32 v30, 0
	v_mov_b32_e32 v31, v30
	global_store_dwordx4 v[2:3], v[28:31], off
	s_mov_b64 s[4:5], 0
.LBB11_713:
	s_andn2_b64 vcc, exec, s[4:5]
	s_cbranch_vccnz .LBB11_715
; %bb.714:
	v_cvt_f32_f64_e32 v4, v[28:29]
	v_mov_b32_e32 v5, 0
	global_store_dwordx2 v[2:3], v[4:5], off
.LBB11_715:
	s_mov_b64 s[4:5], 0
.LBB11_716:
	s_andn2_b64 vcc, exec, s[4:5]
	s_cbranch_vccnz .LBB11_718
; %bb.717:
	v_cvt_f32_f64_e32 v4, v[28:29]
	v_cvt_f16_f32_e32 v4, v4
	global_store_dword v[2:3], v4, off
.LBB11_718:
	s_mov_b64 s[4:5], 0
.LBB11_719:
	s_andn2_b64 vcc, exec, s[4:5]
	s_cbranch_vccnz .LBB11_728
; %bb.720:
	v_mov_b32_e32 v4, 6
	v_cmp_lt_i16_sdwa s[8:9], s16, v4 src0_sel:BYTE_0 src1_sel:DWORD
	s_mov_b64 s[4:5], -1
	s_and_b64 vcc, exec, s[8:9]
	s_cbranch_vccnz .LBB11_726
; %bb.721:
	v_cmp_gt_i16_sdwa s[8:9], s16, v4 src0_sel:BYTE_0 src1_sel:DWORD
	s_and_b64 vcc, exec, s[8:9]
	s_cbranch_vccz .LBB11_723
; %bb.722:
	global_store_dwordx2 v[2:3], v[28:29], off
	s_mov_b64 s[4:5], 0
.LBB11_723:
	s_andn2_b64 vcc, exec, s[4:5]
	s_cbranch_vccnz .LBB11_725
; %bb.724:
	v_cvt_f32_f64_e32 v4, v[28:29]
	global_store_dword v[2:3], v4, off
.LBB11_725:
	s_mov_b64 s[4:5], 0
.LBB11_726:
	s_andn2_b64 vcc, exec, s[4:5]
	s_cbranch_vccnz .LBB11_728
; %bb.727:
	v_cvt_f32_f64_e32 v4, v[28:29]
	v_cvt_f16_f32_e32 v4, v4
	global_store_short v[2:3], v4, off
.LBB11_728:
	s_mov_b64 s[4:5], 0
.LBB11_729:
	s_andn2_b64 vcc, exec, s[4:5]
	s_cbranch_vccnz .LBB11_745
; %bb.730:
	v_mov_b32_e32 v4, 2
	v_cmp_lt_i16_sdwa s[8:9], s16, v4 src0_sel:BYTE_0 src1_sel:DWORD
	s_mov_b64 s[4:5], -1
	s_and_b64 vcc, exec, s[8:9]
	s_cbranch_vccnz .LBB11_740
; %bb.731:
	v_mov_b32_e32 v4, 3
	v_cmp_lt_i16_sdwa s[8:9], s16, v4 src0_sel:BYTE_0 src1_sel:DWORD
	s_and_b64 vcc, exec, s[8:9]
	s_cbranch_vccnz .LBB11_737
; %bb.732:
	v_cmp_gt_i16_sdwa s[8:9], s16, v4 src0_sel:BYTE_0 src1_sel:DWORD
	s_and_b64 vcc, exec, s[8:9]
	s_cbranch_vccz .LBB11_734
; %bb.733:
	v_trunc_f64_e32 v[4:5], v[28:29]
	s_movk_i32 s4, 0xffe0
	v_ldexp_f64 v[6:7], v[4:5], s4
	v_floor_f64_e32 v[6:7], v[6:7]
	v_fmac_f64_e32 v[4:5], 0xc1f00000, v[6:7]
	v_cvt_i32_f64_e32 v9, v[6:7]
	v_cvt_u32_f64_e32 v8, v[4:5]
	global_store_dwordx2 v[2:3], v[8:9], off
	s_mov_b64 s[4:5], 0
.LBB11_734:
	s_andn2_b64 vcc, exec, s[4:5]
	s_cbranch_vccnz .LBB11_736
; %bb.735:
	v_cvt_i32_f64_e32 v4, v[28:29]
	global_store_dword v[2:3], v4, off
.LBB11_736:
	s_mov_b64 s[4:5], 0
.LBB11_737:
	s_andn2_b64 vcc, exec, s[4:5]
	s_cbranch_vccnz .LBB11_739
; %bb.738:
	v_cvt_i32_f64_e32 v4, v[28:29]
	global_store_short v[2:3], v4, off
.LBB11_739:
	s_mov_b64 s[4:5], 0
.LBB11_740:
	s_andn2_b64 vcc, exec, s[4:5]
	s_cbranch_vccnz .LBB11_745
; %bb.741:
	v_mov_b32_e32 v4, 0
	v_cmp_gt_i16_sdwa s[8:9], s16, v4 src0_sel:BYTE_0 src1_sel:DWORD
	s_mov_b64 s[4:5], -1
	s_and_b64 vcc, exec, s[8:9]
	s_cbranch_vccz .LBB11_743
; %bb.742:
	v_cvt_i32_f64_e32 v4, v[28:29]
	global_store_byte v[2:3], v4, off
	s_mov_b64 s[4:5], 0
.LBB11_743:
	s_andn2_b64 vcc, exec, s[4:5]
	s_cbranch_vccnz .LBB11_745
; %bb.744:
	v_trunc_f64_e32 v[4:5], v[28:29]
	s_movk_i32 s4, 0xffe0
	v_ldexp_f64 v[6:7], v[4:5], s4
	v_floor_f64_e32 v[6:7], v[6:7]
	v_fmac_f64_e32 v[4:5], 0xc1f00000, v[6:7]
	v_cvt_u32_f64_e32 v4, v[4:5]
	global_store_byte v[2:3], v4, off
.LBB11_745:
.LBB11_746:
	v_mov_b32_e32 v3, s37
	v_add_co_u32_e32 v2, vcc, s36, v38
	v_mov_b32_e32 v4, 11
	v_addc_co_u32_e32 v3, vcc, 0, v3, vcc
	v_cmp_lt_i16_sdwa s[4:5], s16, v4 src0_sel:BYTE_0 src1_sel:DWORD
	s_and_b64 vcc, exec, s[4:5]
	s_cbranch_vccnz .LBB11_753
; %bb.747:
	v_mov_b32_e32 v4, 25
	v_cmp_gt_i16_sdwa s[4:5], s16, v4 src0_sel:BYTE_0 src1_sel:DWORD
	s_mov_b64 s[12:13], -1
	s_mov_b64 s[8:9], 0
	s_and_b64 vcc, exec, s[4:5]
	s_mov_b64 s[10:11], 0
	s_mov_b64 s[4:5], 0
	s_cbranch_vccz .LBB11_790
; %bb.748:
	v_mov_b32_e32 v4, 28
	v_cmp_gt_i16_sdwa s[4:5], s16, v4 src0_sel:BYTE_0 src1_sel:DWORD
	s_and_b64 vcc, exec, s[4:5]
	s_cbranch_vccz .LBB11_755
; %bb.749:
	v_mov_b32_e32 v4, 43
	v_cmp_gt_i16_sdwa s[4:5], s16, v4 src0_sel:BYTE_0 src1_sel:DWORD
	s_and_b64 vcc, exec, s[4:5]
	;; [unrolled: 5-line block ×3, first 2 shown]
	s_cbranch_vccz .LBB11_762
; %bb.751:
	v_mov_b32_e32 v4, 46
	v_cmp_eq_u16_sdwa s[10:11], s16, v4 src0_sel:BYTE_0 src1_sel:DWORD
	s_mov_b64 s[4:5], -1
	s_mov_b64 s[12:13], 0
	s_and_b64 vcc, exec, s[10:11]
	s_mov_b64 s[10:11], 0
	s_cbranch_vccz .LBB11_763
; %bb.752:
	v_cvt_f32_f64_e32 v4, v[26:27]
	v_bfe_u32 v5, v4, 16, 1
	s_movk_i32 s4, 0x7fff
	v_add3_u32 v5, v4, v5, s4
	v_lshrrev_b32_e32 v5, 16, v5
	v_mov_b32_e32 v6, 0x7fc0
	v_cmp_o_f32_e32 vcc, v4, v4
	v_cndmask_b32_e32 v4, v6, v5, vcc
	global_store_dword v[2:3], v4, off
	s_mov_b64 s[4:5], 0
	s_mov_b64 s[10:11], -1
	s_branch .LBB11_763
.LBB11_753:
	s_mov_b64 s[10:11], 0
	s_cbranch_execnz .LBB11_834
.LBB11_754:
	s_andn2_b64 vcc, exec, s[10:11]
	s_cbranch_vccz .LBB11_872
	s_branch .LBB11_1075
.LBB11_755:
	s_mov_b64 s[4:5], 0
	s_branch .LBB11_773
.LBB11_756:
	s_or_saveexec_b64 s[12:13], s[12:13]
                                        ; implicit-def: $sgpr14
	s_xor_b64 exec, exec, s[12:13]
	s_cbranch_execz .LBB11_658
.LBB11_757:
	s_mov_b32 s14, 0x46000000
	v_add_f32_e64 v5, |v4|, s14
	v_and_b32_e32 v5, 0xff, v5
	v_cmp_ne_u32_e32 vcc, 0, v5
	s_andn2_b64 s[10:11], s[10:11], exec
	s_and_b64 s[18:19], vcc, exec
	s_mov_b32 s14, 0
	s_or_b64 s[10:11], s[10:11], s[18:19]
	s_or_b64 exec, exec, s[12:13]
	v_mov_b32_e32 v6, s14
	s_and_saveexec_b64 s[12:13], s[10:11]
	s_cbranch_execnz .LBB11_659
	s_branch .LBB11_660
.LBB11_758:
	s_mov_b64 s[4:5], 0
	s_branch .LBB11_769
.LBB11_759:
	s_or_b64 s[6:7], s[40:41], exec
	s_trap 2
	s_cbranch_execz .LBB11_706
	s_branch .LBB11_707
.LBB11_760:
	s_or_saveexec_b64 s[10:11], s[10:11]
                                        ; implicit-def: $sgpr12
	s_xor_b64 exec, exec, s[10:11]
	s_cbranch_execz .LBB11_671
.LBB11_761:
	s_mov_b32 s12, 0x42800000
	v_add_f32_e64 v5, |v4|, s12
	v_and_b32_e32 v5, 0xff, v5
	v_cmp_ne_u32_e32 vcc, 0, v5
	s_andn2_b64 s[8:9], s[8:9], exec
	s_and_b64 s[14:15], vcc, exec
	s_mov_b32 s12, 0
	s_or_b64 s[8:9], s[8:9], s[14:15]
	s_or_b64 exec, exec, s[10:11]
	v_mov_b32_e32 v6, s12
	s_and_saveexec_b64 s[10:11], s[8:9]
	s_cbranch_execnz .LBB11_672
	s_branch .LBB11_673
.LBB11_762:
	s_mov_b64 s[4:5], 0
.LBB11_763:
	s_and_b64 vcc, exec, s[12:13]
	s_cbranch_vccz .LBB11_768
; %bb.764:
	v_mov_b32_e32 v4, 44
	v_cmp_eq_u16_sdwa s[12:13], s16, v4 src0_sel:BYTE_0 src1_sel:DWORD
	s_mov_b64 s[4:5], -1
	s_and_b64 vcc, exec, s[12:13]
	s_cbranch_vccz .LBB11_768
; %bb.765:
	v_cvt_f32_f64_e32 v4, v[26:27]
	v_bfe_u32 v5, v4, 23, 8
	s_movk_i32 s4, 0xff
	v_cmp_ne_u32_e32 vcc, s4, v5
	v_mov_b32_e32 v6, 0xff
	s_and_saveexec_b64 s[10:11], vcc
; %bb.766:
	s_mov_b32 s4, 0x3fffff
	v_lshrrev_b32_e32 v6, 23, v4
	v_and_b32_e32 v7, 0x400000, v4
	v_and_or_b32 v4, v4, s4, v5
	v_cmp_ne_u32_e32 vcc, 0, v7
	v_cmp_ne_u32_e64 s[4:5], 0, v4
	s_and_b64 s[4:5], vcc, s[4:5]
	v_cndmask_b32_e64 v4, 0, 1, s[4:5]
	v_add_u32_e32 v6, v6, v4
; %bb.767:
	s_or_b64 exec, exec, s[10:11]
	s_mov_b64 s[4:5], 0
	s_mov_b64 s[10:11], -1
	global_store_byte v[2:3], v6, off
.LBB11_768:
	s_mov_b64 s[12:13], 0
.LBB11_769:
	s_and_b64 vcc, exec, s[12:13]
	s_cbranch_vccz .LBB11_772
; %bb.770:
	v_mov_b32_e32 v4, 29
	v_cmp_eq_u16_sdwa s[12:13], s16, v4 src0_sel:BYTE_0 src1_sel:DWORD
	s_mov_b64 s[4:5], -1
	s_and_b64 vcc, exec, s[12:13]
	s_cbranch_vccz .LBB11_772
; %bb.771:
	v_trunc_f64_e32 v[4:5], v[26:27]
	s_movk_i32 s4, 0xffe0
	v_ldexp_f64 v[6:7], v[4:5], s4
	v_floor_f64_e32 v[6:7], v[6:7]
	v_fmac_f64_e32 v[4:5], 0xc1f00000, v[6:7]
	v_cvt_u32_f64_e32 v9, v[6:7]
	v_cvt_u32_f64_e32 v8, v[4:5]
	global_store_dwordx2 v[2:3], v[8:9], off
	s_mov_b64 s[4:5], 0
	s_mov_b64 s[10:11], -1
.LBB11_772:
	s_mov_b64 s[12:13], 0
.LBB11_773:
	s_and_b64 vcc, exec, s[12:13]
	s_cbranch_vccz .LBB11_789
; %bb.774:
	v_mov_b32_e32 v4, 27
	v_cmp_lt_i16_sdwa s[12:13], s16, v4 src0_sel:BYTE_0 src1_sel:DWORD
	s_mov_b64 s[10:11], -1
	s_and_b64 vcc, exec, s[12:13]
	s_cbranch_vccnz .LBB11_780
; %bb.775:
	v_cmp_gt_i16_sdwa s[12:13], s16, v4 src0_sel:BYTE_0 src1_sel:DWORD
	s_and_b64 vcc, exec, s[12:13]
	s_cbranch_vccz .LBB11_777
; %bb.776:
	v_cvt_u32_f64_e32 v4, v[26:27]
	s_mov_b64 s[10:11], 0
	global_store_dword v[2:3], v4, off
.LBB11_777:
	s_andn2_b64 vcc, exec, s[10:11]
	s_cbranch_vccnz .LBB11_779
; %bb.778:
	v_cvt_u32_f64_e32 v4, v[26:27]
	global_store_short v[2:3], v4, off
.LBB11_779:
	s_mov_b64 s[10:11], 0
.LBB11_780:
	s_andn2_b64 vcc, exec, s[10:11]
	s_cbranch_vccnz .LBB11_788
; %bb.781:
	v_cvt_f32_f64_e32 v4, v[26:27]
	v_and_b32_e32 v5, 0x7fffffff, v4
	s_mov_b32 s10, 0x43800000
	v_cmp_gt_u32_e32 vcc, s10, v5
	v_mov_b32_e32 v6, 0x80
	s_and_saveexec_b64 s[10:11], vcc
	s_cbranch_execz .LBB11_787
; %bb.782:
	s_mov_b32 s12, 0x3bffffff
	v_cmp_lt_u32_e32 vcc, s12, v5
	s_mov_b64 s[12:13], 0
                                        ; implicit-def: $vgpr5
	s_and_saveexec_b64 s[14:15], vcc
	s_xor_b64 s[14:15], exec, s[14:15]
	s_cbranch_execz .LBB11_959
; %bb.783:
	v_bfe_u32 v5, v4, 20, 1
	s_mov_b32 s17, 0x487ffff
	v_add3_u32 v5, v4, v5, s17
	s_mov_b64 s[12:13], exec
	v_lshrrev_b32_e32 v5, 20, v5
	s_or_saveexec_b64 s[14:15], s[14:15]
                                        ; implicit-def: $sgpr17
	s_xor_b64 exec, exec, s[14:15]
	s_cbranch_execnz .LBB11_960
.LBB11_784:
	s_or_b64 exec, exec, s[14:15]
	v_mov_b32_e32 v6, s17
	s_and_saveexec_b64 s[14:15], s[12:13]
.LBB11_785:
	v_lshrrev_b32_e32 v4, 24, v4
	s_movk_i32 s12, 0x80
	v_and_or_b32 v6, v4, s12, v5
.LBB11_786:
	s_or_b64 exec, exec, s[14:15]
.LBB11_787:
	s_or_b64 exec, exec, s[10:11]
	global_store_byte v[2:3], v6, off
.LBB11_788:
	s_mov_b64 s[10:11], -1
.LBB11_789:
	s_mov_b64 s[12:13], 0
.LBB11_790:
	s_and_b64 vcc, exec, s[12:13]
	s_cbranch_vccz .LBB11_830
; %bb.791:
	v_mov_b32_e32 v4, 22
	v_cmp_gt_i16_sdwa s[12:13], s16, v4 src0_sel:BYTE_0 src1_sel:DWORD
	s_mov_b64 s[8:9], -1
	s_and_b64 vcc, exec, s[12:13]
	s_cbranch_vccz .LBB11_823
; %bb.792:
	v_mov_b32_e32 v4, 24
	v_cmp_lt_i16_sdwa s[10:11], s16, v4 src0_sel:BYTE_0 src1_sel:DWORD
	s_and_b64 vcc, exec, s[10:11]
	s_cbranch_vccnz .LBB11_812
; %bb.793:
	v_cmp_gt_i16_sdwa s[10:11], s16, v4 src0_sel:BYTE_0 src1_sel:DWORD
	s_and_b64 vcc, exec, s[10:11]
	s_cbranch_vccz .LBB11_801
; %bb.794:
	v_cvt_f32_f64_e32 v4, v[26:27]
	v_and_b32_e32 v5, 0x7fffffff, v4
	s_mov_b32 s8, 0x47800000
	v_cmp_gt_u32_e32 vcc, s8, v5
	v_mov_b32_e32 v6, 0x80
	s_and_saveexec_b64 s[8:9], vcc
	s_cbranch_execz .LBB11_800
; %bb.795:
	s_mov_b32 s10, 0x37ffffff
	v_cmp_lt_u32_e32 vcc, s10, v5
	s_mov_b64 s[10:11], 0
                                        ; implicit-def: $vgpr5
	s_and_saveexec_b64 s[12:13], vcc
	s_xor_b64 s[12:13], exec, s[12:13]
	s_cbranch_execz .LBB11_963
; %bb.796:
	v_bfe_u32 v5, v4, 21, 1
	s_mov_b32 s14, 0x88fffff
	v_add3_u32 v5, v4, v5, s14
	s_mov_b64 s[10:11], exec
	v_lshrrev_b32_e32 v5, 21, v5
	s_or_saveexec_b64 s[12:13], s[12:13]
                                        ; implicit-def: $sgpr14
	s_xor_b64 exec, exec, s[12:13]
	s_cbranch_execnz .LBB11_964
.LBB11_797:
	s_or_b64 exec, exec, s[12:13]
	v_mov_b32_e32 v6, s14
	s_and_saveexec_b64 s[12:13], s[10:11]
.LBB11_798:
	v_lshrrev_b32_e32 v4, 24, v4
	s_movk_i32 s10, 0x80
	v_and_or_b32 v6, v4, s10, v5
.LBB11_799:
	s_or_b64 exec, exec, s[12:13]
.LBB11_800:
	s_or_b64 exec, exec, s[8:9]
	s_mov_b64 s[8:9], 0
	global_store_byte v[2:3], v6, off
.LBB11_801:
	s_and_b64 vcc, exec, s[8:9]
	s_cbranch_vccz .LBB11_811
; %bb.802:
	v_cvt_f32_f64_e32 v4, v[26:27]
	v_and_b32_e32 v6, 0x7fffffff, v4
	s_mov_b32 s8, 0x43f00000
	v_cmp_gt_u32_e32 vcc, s8, v6
                                        ; implicit-def: $vgpr5
	s_and_saveexec_b64 s[8:9], vcc
	s_xor_b64 s[8:9], exec, s[8:9]
	s_cbranch_execz .LBB11_808
; %bb.803:
	s_mov_b32 s10, 0x3c7fffff
	v_cmp_lt_u32_e32 vcc, s10, v6
                                        ; implicit-def: $vgpr5
	s_and_saveexec_b64 s[10:11], vcc
	s_xor_b64 s[10:11], exec, s[10:11]
; %bb.804:
	v_bfe_u32 v5, v4, 20, 1
	s_mov_b32 s12, 0x407ffff
	v_add3_u32 v5, v4, v5, s12
	v_lshrrev_b32_e32 v6, 20, v5
	v_and_b32_e32 v5, 0xff00000, v5
	s_mov_b32 s12, 0x7f00000
	v_mov_b32_e32 v7, 0x7e
	v_cmp_ne_u32_e32 vcc, s12, v5
	v_cndmask_b32_e32 v5, v7, v6, vcc
; %bb.805:
	s_andn2_saveexec_b64 s[10:11], s[10:11]
; %bb.806:
	s_mov_b32 s12, 0x46800000
	v_add_f32_e64 v5, |v4|, s12
; %bb.807:
	s_or_b64 exec, exec, s[10:11]
                                        ; implicit-def: $vgpr6
.LBB11_808:
	s_andn2_saveexec_b64 s[8:9], s[8:9]
; %bb.809:
	s_mov_b32 s10, 0x7f800000
	v_mov_b32_e32 v5, 0x7e
	v_mov_b32_e32 v7, 0x7f
	v_cmp_lt_u32_e32 vcc, s10, v6
	v_cndmask_b32_e32 v5, v5, v7, vcc
; %bb.810:
	s_or_b64 exec, exec, s[8:9]
	v_lshrrev_b32_e32 v4, 24, v4
	s_movk_i32 s8, 0x80
	v_and_or_b32 v4, v4, s8, v5
	global_store_byte v[2:3], v4, off
.LBB11_811:
	s_mov_b64 s[8:9], 0
.LBB11_812:
	s_andn2_b64 vcc, exec, s[8:9]
	s_cbranch_vccnz .LBB11_822
; %bb.813:
	v_cvt_f32_f64_e32 v4, v[26:27]
	v_and_b32_e32 v6, 0x7fffffff, v4
	s_mov_b32 s8, 0x47800000
	v_cmp_gt_u32_e32 vcc, s8, v6
                                        ; implicit-def: $vgpr5
	s_and_saveexec_b64 s[8:9], vcc
	s_xor_b64 s[8:9], exec, s[8:9]
	s_cbranch_execz .LBB11_819
; %bb.814:
	s_mov_b32 s10, 0x387fffff
	v_cmp_lt_u32_e32 vcc, s10, v6
                                        ; implicit-def: $vgpr5
	s_and_saveexec_b64 s[10:11], vcc
	s_xor_b64 s[10:11], exec, s[10:11]
; %bb.815:
	v_bfe_u32 v5, v4, 21, 1
	s_mov_b32 s12, 0x80fffff
	v_add3_u32 v5, v4, v5, s12
	v_lshrrev_b32_e32 v5, 21, v5
; %bb.816:
	s_andn2_saveexec_b64 s[10:11], s[10:11]
; %bb.817:
	s_mov_b32 s12, 0x43000000
	v_add_f32_e64 v5, |v4|, s12
; %bb.818:
	s_or_b64 exec, exec, s[10:11]
                                        ; implicit-def: $vgpr6
.LBB11_819:
	s_andn2_saveexec_b64 s[8:9], s[8:9]
; %bb.820:
	s_mov_b32 s10, 0x7f800000
	v_mov_b32_e32 v5, 0x7c
	v_mov_b32_e32 v7, 0x7f
	v_cmp_lt_u32_e32 vcc, s10, v6
	v_cndmask_b32_e32 v5, v5, v7, vcc
; %bb.821:
	s_or_b64 exec, exec, s[8:9]
	v_lshrrev_b32_e32 v4, 24, v4
	s_movk_i32 s8, 0x80
	v_and_or_b32 v4, v4, s8, v5
	global_store_byte v[2:3], v4, off
.LBB11_822:
	s_mov_b64 s[8:9], 0
	s_mov_b64 s[10:11], -1
.LBB11_823:
	s_andn2_b64 vcc, exec, s[8:9]
	s_mov_b64 s[8:9], 0
	s_cbranch_vccnz .LBB11_830
; %bb.824:
	v_mov_b32_e32 v4, 14
	v_cmp_gt_i16_sdwa s[8:9], s16, v4 src0_sel:BYTE_0 src1_sel:DWORD
	s_mov_b64 s[12:13], -1
	s_and_b64 vcc, exec, s[8:9]
	s_cbranch_vccz .LBB11_828
; %bb.825:
	v_mov_b32_e32 v4, 15
	v_cmp_eq_u16_sdwa s[8:9], s16, v4 src0_sel:BYTE_0 src1_sel:DWORD
	s_mov_b64 s[4:5], -1
	s_and_b64 vcc, exec, s[8:9]
	s_cbranch_vccz .LBB11_827
; %bb.826:
	v_cvt_f32_f64_e32 v4, v[26:27]
	v_bfe_u32 v5, v4, 16, 1
	s_movk_i32 s4, 0x7fff
	v_add3_u32 v5, v4, v5, s4
	v_lshrrev_b32_e32 v5, 16, v5
	v_mov_b32_e32 v6, 0x7fc0
	v_cmp_o_f32_e32 vcc, v4, v4
	v_cndmask_b32_e32 v4, v6, v5, vcc
	global_store_short v[2:3], v4, off
	s_mov_b64 s[4:5], 0
	s_mov_b64 s[10:11], -1
.LBB11_827:
	s_mov_b64 s[12:13], 0
.LBB11_828:
	s_mov_b64 s[8:9], 0
	s_and_b64 vcc, exec, s[12:13]
	s_cbranch_vccz .LBB11_830
; %bb.829:
	v_mov_b32_e32 v4, 11
	v_cmp_ne_u16_sdwa s[4:5], s16, v4 src0_sel:BYTE_0 src1_sel:DWORD
	s_mov_b64 s[8:9], -1
.LBB11_830:
	s_and_b64 vcc, exec, s[4:5]
	s_cbranch_vccnz .LBB11_962
; %bb.831:
	s_andn2_b64 vcc, exec, s[8:9]
	s_cbranch_vccnz .LBB11_833
.LBB11_832:
	v_cmp_neq_f64_e32 vcc, 0, v[26:27]
	v_cndmask_b32_e64 v4, 0, 1, vcc
	s_mov_b64 s[10:11], -1
	global_store_byte v[2:3], v4, off
.LBB11_833:
	s_branch .LBB11_754
.LBB11_834:
	v_mov_b32_e32 v4, 5
	v_cmp_lt_i16_sdwa s[8:9], s16, v4 src0_sel:BYTE_0 src1_sel:DWORD
	s_mov_b64 s[4:5], -1
	s_and_b64 vcc, exec, s[8:9]
	s_cbranch_vccnz .LBB11_855
; %bb.835:
	v_mov_b32_e32 v4, 8
	v_cmp_lt_i16_sdwa s[8:9], s16, v4 src0_sel:BYTE_0 src1_sel:DWORD
	s_and_b64 vcc, exec, s[8:9]
	s_cbranch_vccnz .LBB11_845
; %bb.836:
	v_mov_b32_e32 v4, 9
	v_cmp_lt_i16_sdwa s[8:9], s16, v4 src0_sel:BYTE_0 src1_sel:DWORD
	s_and_b64 vcc, exec, s[8:9]
	s_cbranch_vccnz .LBB11_842
; %bb.837:
	v_cmp_gt_i16_sdwa s[8:9], s16, v4 src0_sel:BYTE_0 src1_sel:DWORD
	s_and_b64 vcc, exec, s[8:9]
	s_cbranch_vccz .LBB11_839
; %bb.838:
	v_mov_b32_e32 v28, 0
	v_mov_b32_e32 v29, v28
	global_store_dwordx4 v[2:3], v[26:29], off
	s_mov_b64 s[4:5], 0
.LBB11_839:
	s_andn2_b64 vcc, exec, s[4:5]
	s_cbranch_vccnz .LBB11_841
; %bb.840:
	v_cvt_f32_f64_e32 v4, v[26:27]
	v_mov_b32_e32 v5, 0
	global_store_dwordx2 v[2:3], v[4:5], off
.LBB11_841:
	s_mov_b64 s[4:5], 0
.LBB11_842:
	s_andn2_b64 vcc, exec, s[4:5]
	s_cbranch_vccnz .LBB11_844
; %bb.843:
	v_cvt_f32_f64_e32 v4, v[26:27]
	v_cvt_f16_f32_e32 v4, v4
	global_store_dword v[2:3], v4, off
.LBB11_844:
	s_mov_b64 s[4:5], 0
.LBB11_845:
	s_andn2_b64 vcc, exec, s[4:5]
	s_cbranch_vccnz .LBB11_854
; %bb.846:
	v_mov_b32_e32 v4, 6
	v_cmp_lt_i16_sdwa s[8:9], s16, v4 src0_sel:BYTE_0 src1_sel:DWORD
	s_mov_b64 s[4:5], -1
	s_and_b64 vcc, exec, s[8:9]
	s_cbranch_vccnz .LBB11_852
; %bb.847:
	v_cmp_gt_i16_sdwa s[8:9], s16, v4 src0_sel:BYTE_0 src1_sel:DWORD
	s_and_b64 vcc, exec, s[8:9]
	s_cbranch_vccz .LBB11_849
; %bb.848:
	global_store_dwordx2 v[2:3], v[26:27], off
	s_mov_b64 s[4:5], 0
.LBB11_849:
	s_andn2_b64 vcc, exec, s[4:5]
	s_cbranch_vccnz .LBB11_851
; %bb.850:
	v_cvt_f32_f64_e32 v4, v[26:27]
	global_store_dword v[2:3], v4, off
.LBB11_851:
	s_mov_b64 s[4:5], 0
.LBB11_852:
	s_andn2_b64 vcc, exec, s[4:5]
	s_cbranch_vccnz .LBB11_854
; %bb.853:
	v_cvt_f32_f64_e32 v4, v[26:27]
	v_cvt_f16_f32_e32 v4, v4
	global_store_short v[2:3], v4, off
.LBB11_854:
	s_mov_b64 s[4:5], 0
.LBB11_855:
	s_andn2_b64 vcc, exec, s[4:5]
	s_cbranch_vccnz .LBB11_871
; %bb.856:
	v_mov_b32_e32 v4, 2
	v_cmp_lt_i16_sdwa s[8:9], s16, v4 src0_sel:BYTE_0 src1_sel:DWORD
	s_mov_b64 s[4:5], -1
	s_and_b64 vcc, exec, s[8:9]
	s_cbranch_vccnz .LBB11_866
; %bb.857:
	v_mov_b32_e32 v4, 3
	v_cmp_lt_i16_sdwa s[8:9], s16, v4 src0_sel:BYTE_0 src1_sel:DWORD
	s_and_b64 vcc, exec, s[8:9]
	s_cbranch_vccnz .LBB11_863
; %bb.858:
	v_cmp_gt_i16_sdwa s[8:9], s16, v4 src0_sel:BYTE_0 src1_sel:DWORD
	s_and_b64 vcc, exec, s[8:9]
	s_cbranch_vccz .LBB11_860
; %bb.859:
	v_trunc_f64_e32 v[4:5], v[26:27]
	s_movk_i32 s4, 0xffe0
	v_ldexp_f64 v[6:7], v[4:5], s4
	v_floor_f64_e32 v[6:7], v[6:7]
	v_fmac_f64_e32 v[4:5], 0xc1f00000, v[6:7]
	v_cvt_i32_f64_e32 v9, v[6:7]
	v_cvt_u32_f64_e32 v8, v[4:5]
	global_store_dwordx2 v[2:3], v[8:9], off
	s_mov_b64 s[4:5], 0
.LBB11_860:
	s_andn2_b64 vcc, exec, s[4:5]
	s_cbranch_vccnz .LBB11_862
; %bb.861:
	v_cvt_i32_f64_e32 v4, v[26:27]
	global_store_dword v[2:3], v4, off
.LBB11_862:
	s_mov_b64 s[4:5], 0
.LBB11_863:
	s_andn2_b64 vcc, exec, s[4:5]
	s_cbranch_vccnz .LBB11_865
; %bb.864:
	v_cvt_i32_f64_e32 v4, v[26:27]
	global_store_short v[2:3], v4, off
.LBB11_865:
	s_mov_b64 s[4:5], 0
.LBB11_866:
	s_andn2_b64 vcc, exec, s[4:5]
	s_cbranch_vccnz .LBB11_871
; %bb.867:
	v_mov_b32_e32 v4, 0
	v_cmp_gt_i16_sdwa s[8:9], s16, v4 src0_sel:BYTE_0 src1_sel:DWORD
	s_mov_b64 s[4:5], -1
	s_and_b64 vcc, exec, s[8:9]
	s_cbranch_vccz .LBB11_869
; %bb.868:
	v_cvt_i32_f64_e32 v4, v[26:27]
	global_store_byte v[2:3], v4, off
	s_mov_b64 s[4:5], 0
.LBB11_869:
	s_andn2_b64 vcc, exec, s[4:5]
	s_cbranch_vccnz .LBB11_871
; %bb.870:
	v_trunc_f64_e32 v[4:5], v[26:27]
	s_movk_i32 s4, 0xffe0
	v_ldexp_f64 v[6:7], v[4:5], s4
	v_floor_f64_e32 v[6:7], v[6:7]
	v_fmac_f64_e32 v[4:5], 0xc1f00000, v[6:7]
	v_cvt_u32_f64_e32 v4, v[4:5]
	global_store_byte v[2:3], v4, off
.LBB11_871:
.LBB11_872:
	v_mov_b32_e32 v3, s37
	v_add_co_u32_e32 v2, vcc, s36, v36
	v_mov_b32_e32 v4, 11
	v_addc_co_u32_e32 v3, vcc, 0, v3, vcc
	v_cmp_lt_i16_sdwa s[4:5], s16, v4 src0_sel:BYTE_0 src1_sel:DWORD
	s_and_b64 vcc, exec, s[4:5]
	s_cbranch_vccnz .LBB11_879
; %bb.873:
	v_mov_b32_e32 v4, 25
	v_cmp_gt_i16_sdwa s[4:5], s16, v4 src0_sel:BYTE_0 src1_sel:DWORD
	s_mov_b64 s[12:13], -1
	s_mov_b64 s[8:9], 0
	s_and_b64 vcc, exec, s[4:5]
	s_mov_b64 s[10:11], 0
	s_mov_b64 s[4:5], 0
	s_cbranch_vccz .LBB11_993
; %bb.874:
	v_mov_b32_e32 v4, 28
	v_cmp_gt_i16_sdwa s[4:5], s16, v4 src0_sel:BYTE_0 src1_sel:DWORD
	s_and_b64 vcc, exec, s[4:5]
	s_cbranch_vccz .LBB11_958
; %bb.875:
	v_mov_b32_e32 v4, 43
	v_cmp_gt_i16_sdwa s[4:5], s16, v4 src0_sel:BYTE_0 src1_sel:DWORD
	s_and_b64 vcc, exec, s[4:5]
	;; [unrolled: 5-line block ×3, first 2 shown]
	s_cbranch_vccz .LBB11_965
; %bb.877:
	v_mov_b32_e32 v4, 46
	v_cmp_eq_u16_sdwa s[10:11], s16, v4 src0_sel:BYTE_0 src1_sel:DWORD
	s_mov_b64 s[4:5], -1
	s_mov_b64 s[12:13], 0
	s_and_b64 vcc, exec, s[10:11]
	s_mov_b64 s[10:11], 0
	s_cbranch_vccz .LBB11_966
; %bb.878:
	v_cvt_f32_f64_e32 v4, v[24:25]
	v_bfe_u32 v5, v4, 16, 1
	s_movk_i32 s4, 0x7fff
	v_add3_u32 v5, v4, v5, s4
	v_lshrrev_b32_e32 v5, 16, v5
	v_mov_b32_e32 v6, 0x7fc0
	v_cmp_o_f32_e32 vcc, v4, v4
	v_cndmask_b32_e32 v4, v6, v5, vcc
	global_store_dword v[2:3], v4, off
	s_mov_b64 s[4:5], 0
	s_mov_b64 s[10:11], -1
	s_branch .LBB11_966
.LBB11_879:
	s_mov_b64 s[10:11], 0
	s_cbranch_execnz .LBB11_1037
.LBB11_880:
	s_andn2_b64 vcc, exec, s[10:11]
	s_cbranch_vccnz .LBB11_1075
.LBB11_881:
	v_mov_b32_e32 v2, s37
	v_add_co_u32_e32 v4, vcc, s36, v34
	v_addc_co_u32_e32 v5, vcc, 0, v2, vcc
	v_mov_b32_e32 v2, 0xff
	v_and_b32_e32 v7, s16, v2
	v_cmp_gt_i16_e32 vcc, 11, v7
	s_cbranch_vccnz .LBB11_957
; %bb.882:
	v_cmp_lt_i16_e32 vcc, 25, v7
	s_mov_b64 s[10:11], -1
	s_mov_b64 s[8:9], 0
	s_mov_b64 s[4:5], 0
	s_cbranch_vccz .LBB11_915
; %bb.883:
	v_cmp_lt_i16_e32 vcc, 28, v7
	s_cbranch_vccz .LBB11_899
; %bb.884:
	v_cmp_lt_i16_e32 vcc, 43, v7
	;; [unrolled: 3-line block ×3, first 2 shown]
	s_cbranch_vccz .LBB11_889
; %bb.886:
	v_cmp_eq_u16_e32 vcc, 46, v7
	s_mov_b64 s[4:5], -1
	s_cbranch_vccz .LBB11_888
; %bb.887:
	v_cvt_f32_f64_e32 v2, v[0:1]
	v_bfe_u32 v3, v2, 16, 1
	s_movk_i32 s4, 0x7fff
	v_add3_u32 v3, v2, v3, s4
	v_lshrrev_b32_e32 v3, 16, v3
	v_mov_b32_e32 v6, 0x7fc0
	v_cmp_o_f32_e32 vcc, v2, v2
	v_cndmask_b32_e32 v2, v6, v3, vcc
	global_store_dword v[4:5], v2, off
	s_mov_b64 s[4:5], 0
.LBB11_888:
	s_mov_b64 s[10:11], 0
.LBB11_889:
	s_and_b64 vcc, exec, s[10:11]
	s_cbranch_vccz .LBB11_894
; %bb.890:
	v_cmp_eq_u16_e32 vcc, 44, v7
	s_mov_b64 s[4:5], -1
	s_cbranch_vccz .LBB11_894
; %bb.891:
	v_cvt_f32_f64_e32 v2, v[0:1]
	v_bfe_u32 v3, v2, 23, 8
	s_movk_i32 s4, 0xff
	v_cmp_ne_u32_e32 vcc, s4, v3
	v_mov_b32_e32 v6, 0xff
	s_and_saveexec_b64 s[10:11], vcc
; %bb.892:
	s_mov_b32 s4, 0x3fffff
	v_lshrrev_b32_e32 v6, 23, v2
	v_and_b32_e32 v8, 0x400000, v2
	v_and_or_b32 v2, v2, s4, v3
	v_cmp_ne_u32_e32 vcc, 0, v8
	v_cmp_ne_u32_e64 s[4:5], 0, v2
	s_and_b64 s[4:5], vcc, s[4:5]
	v_cndmask_b32_e64 v2, 0, 1, s[4:5]
	v_add_u32_e32 v6, v6, v2
; %bb.893:
	s_or_b64 exec, exec, s[10:11]
	s_mov_b64 s[4:5], 0
	global_store_byte v[4:5], v6, off
.LBB11_894:
	s_mov_b64 s[10:11], 0
.LBB11_895:
	s_and_b64 vcc, exec, s[10:11]
	s_cbranch_vccz .LBB11_898
; %bb.896:
	v_cmp_eq_u16_e32 vcc, 29, v7
	s_mov_b64 s[4:5], -1
	s_cbranch_vccz .LBB11_898
; %bb.897:
	v_trunc_f64_e32 v[2:3], v[0:1]
	s_movk_i32 s4, 0xffe0
	v_ldexp_f64 v[8:9], v[2:3], s4
	v_floor_f64_e32 v[8:9], v[8:9]
	v_fmac_f64_e32 v[2:3], 0xc1f00000, v[8:9]
	v_cvt_u32_f64_e32 v11, v[8:9]
	v_cvt_u32_f64_e32 v10, v[2:3]
	global_store_dwordx2 v[4:5], v[10:11], off
	s_mov_b64 s[4:5], 0
.LBB11_898:
	s_mov_b64 s[10:11], 0
.LBB11_899:
	s_and_b64 vcc, exec, s[10:11]
	s_cbranch_vccz .LBB11_914
; %bb.900:
	v_cmp_gt_i16_e32 vcc, 27, v7
	s_mov_b64 s[10:11], -1
	s_cbranch_vccnz .LBB11_906
; %bb.901:
	v_cmp_lt_i16_e32 vcc, 27, v7
	v_cvt_u32_f64_e32 v2, v[0:1]
	s_cbranch_vccz .LBB11_903
; %bb.902:
	global_store_dword v[4:5], v2, off
	s_mov_b64 s[10:11], 0
.LBB11_903:
	s_andn2_b64 vcc, exec, s[10:11]
	s_cbranch_vccnz .LBB11_905
; %bb.904:
	global_store_short v[4:5], v2, off
.LBB11_905:
	s_mov_b64 s[10:11], 0
.LBB11_906:
	s_andn2_b64 vcc, exec, s[10:11]
	s_cbranch_vccnz .LBB11_914
; %bb.907:
	v_cvt_f32_f64_e32 v2, v[0:1]
	v_and_b32_e32 v3, 0x7fffffff, v2
	s_mov_b32 s10, 0x43800000
	v_cmp_gt_u32_e32 vcc, s10, v3
	v_mov_b32_e32 v6, 0x80
	s_and_saveexec_b64 s[10:11], vcc
	s_cbranch_execz .LBB11_913
; %bb.908:
	s_mov_b32 s12, 0x3bffffff
	v_cmp_lt_u32_e32 vcc, s12, v3
	s_mov_b64 s[12:13], 0
                                        ; implicit-def: $vgpr3
	s_and_saveexec_b64 s[14:15], vcc
	s_xor_b64 s[14:15], exec, s[14:15]
	s_cbranch_execz .LBB11_1125
; %bb.909:
	v_bfe_u32 v3, v2, 20, 1
	s_mov_b32 s16, 0x487ffff
	v_add3_u32 v3, v2, v3, s16
	s_mov_b64 s[12:13], exec
	v_lshrrev_b32_e32 v3, 20, v3
	s_or_saveexec_b64 s[14:15], s[14:15]
                                        ; implicit-def: $sgpr16
	s_xor_b64 exec, exec, s[14:15]
	s_cbranch_execnz .LBB11_1126
.LBB11_910:
	s_or_b64 exec, exec, s[14:15]
	v_mov_b32_e32 v6, s16
	s_and_saveexec_b64 s[14:15], s[12:13]
.LBB11_911:
	v_lshrrev_b32_e32 v2, 24, v2
	s_movk_i32 s12, 0x80
	v_and_or_b32 v6, v2, s12, v3
.LBB11_912:
	s_or_b64 exec, exec, s[14:15]
.LBB11_913:
	s_or_b64 exec, exec, s[10:11]
	global_store_byte v[4:5], v6, off
.LBB11_914:
	s_mov_b64 s[10:11], 0
.LBB11_915:
	s_and_b64 vcc, exec, s[10:11]
	s_cbranch_vccz .LBB11_955
; %bb.916:
	v_cmp_lt_i16_e32 vcc, 22, v7
	s_mov_b64 s[8:9], -1
	s_cbranch_vccz .LBB11_948
; %bb.917:
	v_cmp_gt_i16_e32 vcc, 24, v7
	s_cbranch_vccnz .LBB11_937
; %bb.918:
	v_cmp_lt_i16_e32 vcc, 24, v7
	s_cbranch_vccz .LBB11_926
; %bb.919:
	v_cvt_f32_f64_e32 v2, v[0:1]
	v_and_b32_e32 v3, 0x7fffffff, v2
	s_mov_b32 s8, 0x47800000
	v_cmp_gt_u32_e32 vcc, s8, v3
	v_mov_b32_e32 v6, 0x80
	s_and_saveexec_b64 s[8:9], vcc
	s_cbranch_execz .LBB11_925
; %bb.920:
	s_mov_b32 s10, 0x37ffffff
	v_cmp_lt_u32_e32 vcc, s10, v3
	s_mov_b64 s[10:11], 0
                                        ; implicit-def: $vgpr3
	s_and_saveexec_b64 s[12:13], vcc
	s_xor_b64 s[12:13], exec, s[12:13]
	s_cbranch_execz .LBB11_1134
; %bb.921:
	v_bfe_u32 v3, v2, 21, 1
	s_mov_b32 s14, 0x88fffff
	v_add3_u32 v3, v2, v3, s14
	s_mov_b64 s[10:11], exec
	v_lshrrev_b32_e32 v3, 21, v3
	s_or_saveexec_b64 s[12:13], s[12:13]
                                        ; implicit-def: $sgpr14
	s_xor_b64 exec, exec, s[12:13]
	s_cbranch_execnz .LBB11_1135
.LBB11_922:
	s_or_b64 exec, exec, s[12:13]
	v_mov_b32_e32 v6, s14
	s_and_saveexec_b64 s[12:13], s[10:11]
.LBB11_923:
	v_lshrrev_b32_e32 v2, 24, v2
	s_movk_i32 s10, 0x80
	v_and_or_b32 v6, v2, s10, v3
.LBB11_924:
	s_or_b64 exec, exec, s[12:13]
.LBB11_925:
	s_or_b64 exec, exec, s[8:9]
	s_mov_b64 s[8:9], 0
	global_store_byte v[4:5], v6, off
.LBB11_926:
	s_and_b64 vcc, exec, s[8:9]
	s_cbranch_vccz .LBB11_936
; %bb.927:
	v_cvt_f32_f64_e32 v2, v[0:1]
	v_and_b32_e32 v6, 0x7fffffff, v2
	s_mov_b32 s8, 0x43f00000
	v_cmp_gt_u32_e32 vcc, s8, v6
                                        ; implicit-def: $vgpr3
	s_and_saveexec_b64 s[8:9], vcc
	s_xor_b64 s[8:9], exec, s[8:9]
	s_cbranch_execz .LBB11_933
; %bb.928:
	s_mov_b32 s10, 0x3c7fffff
	v_cmp_lt_u32_e32 vcc, s10, v6
                                        ; implicit-def: $vgpr3
	s_and_saveexec_b64 s[10:11], vcc
	s_xor_b64 s[10:11], exec, s[10:11]
; %bb.929:
	v_bfe_u32 v3, v2, 20, 1
	s_mov_b32 s12, 0x407ffff
	v_add3_u32 v3, v2, v3, s12
	v_lshrrev_b32_e32 v6, 20, v3
	v_and_b32_e32 v3, 0xff00000, v3
	s_mov_b32 s12, 0x7f00000
	v_mov_b32_e32 v8, 0x7e
	v_cmp_ne_u32_e32 vcc, s12, v3
	v_cndmask_b32_e32 v3, v8, v6, vcc
; %bb.930:
	s_andn2_saveexec_b64 s[10:11], s[10:11]
; %bb.931:
	s_mov_b32 s12, 0x46800000
	v_add_f32_e64 v3, |v2|, s12
; %bb.932:
	s_or_b64 exec, exec, s[10:11]
                                        ; implicit-def: $vgpr6
.LBB11_933:
	s_andn2_saveexec_b64 s[8:9], s[8:9]
; %bb.934:
	s_mov_b32 s10, 0x7f800000
	v_mov_b32_e32 v3, 0x7e
	v_mov_b32_e32 v8, 0x7f
	v_cmp_lt_u32_e32 vcc, s10, v6
	v_cndmask_b32_e32 v3, v3, v8, vcc
; %bb.935:
	s_or_b64 exec, exec, s[8:9]
	v_lshrrev_b32_e32 v2, 24, v2
	s_movk_i32 s8, 0x80
	v_and_or_b32 v2, v2, s8, v3
	global_store_byte v[4:5], v2, off
.LBB11_936:
	s_mov_b64 s[8:9], 0
.LBB11_937:
	s_andn2_b64 vcc, exec, s[8:9]
	s_cbranch_vccnz .LBB11_947
; %bb.938:
	v_cvt_f32_f64_e32 v2, v[0:1]
	v_and_b32_e32 v6, 0x7fffffff, v2
	s_mov_b32 s8, 0x47800000
	v_cmp_gt_u32_e32 vcc, s8, v6
                                        ; implicit-def: $vgpr3
	s_and_saveexec_b64 s[8:9], vcc
	s_xor_b64 s[8:9], exec, s[8:9]
	s_cbranch_execz .LBB11_944
; %bb.939:
	s_mov_b32 s10, 0x387fffff
	v_cmp_lt_u32_e32 vcc, s10, v6
                                        ; implicit-def: $vgpr3
	s_and_saveexec_b64 s[10:11], vcc
	s_xor_b64 s[10:11], exec, s[10:11]
; %bb.940:
	v_bfe_u32 v3, v2, 21, 1
	s_mov_b32 s12, 0x80fffff
	v_add3_u32 v3, v2, v3, s12
	v_lshrrev_b32_e32 v3, 21, v3
; %bb.941:
	s_andn2_saveexec_b64 s[10:11], s[10:11]
; %bb.942:
	s_mov_b32 s12, 0x43000000
	v_add_f32_e64 v3, |v2|, s12
; %bb.943:
	s_or_b64 exec, exec, s[10:11]
                                        ; implicit-def: $vgpr6
.LBB11_944:
	s_andn2_saveexec_b64 s[8:9], s[8:9]
; %bb.945:
	s_mov_b32 s10, 0x7f800000
	v_mov_b32_e32 v3, 0x7c
	v_mov_b32_e32 v8, 0x7f
	v_cmp_lt_u32_e32 vcc, s10, v6
	v_cndmask_b32_e32 v3, v3, v8, vcc
; %bb.946:
	s_or_b64 exec, exec, s[8:9]
	v_lshrrev_b32_e32 v2, 24, v2
	s_movk_i32 s8, 0x80
	v_and_or_b32 v2, v2, s8, v3
	global_store_byte v[4:5], v2, off
.LBB11_947:
	s_mov_b64 s[8:9], 0
.LBB11_948:
	s_andn2_b64 vcc, exec, s[8:9]
	s_mov_b64 s[8:9], 0
	s_cbranch_vccnz .LBB11_955
; %bb.949:
	v_cmp_lt_i16_e32 vcc, 14, v7
	s_mov_b64 s[10:11], -1
	s_cbranch_vccz .LBB11_953
; %bb.950:
	v_cmp_eq_u16_e32 vcc, 15, v7
	s_mov_b64 s[4:5], -1
	s_cbranch_vccz .LBB11_952
; %bb.951:
	v_cvt_f32_f64_e32 v2, v[0:1]
	v_bfe_u32 v3, v2, 16, 1
	s_movk_i32 s4, 0x7fff
	v_add3_u32 v3, v2, v3, s4
	v_lshrrev_b32_e32 v3, 16, v3
	v_mov_b32_e32 v6, 0x7fc0
	v_cmp_o_f32_e32 vcc, v2, v2
	v_cndmask_b32_e32 v2, v6, v3, vcc
	global_store_short v[4:5], v2, off
	s_mov_b64 s[4:5], 0
.LBB11_952:
	s_mov_b64 s[10:11], 0
.LBB11_953:
	s_and_b64 vcc, exec, s[10:11]
	s_cbranch_vccz .LBB11_955
; %bb.954:
	v_cmp_ne_u16_e64 s[4:5], 11, v7
	s_mov_b64 s[8:9], -1
.LBB11_955:
	s_and_b64 vcc, exec, s[4:5]
	s_cbranch_vccnz .LBB11_1129
.LBB11_956:
	s_mov_b64 s[4:5], 0
	s_branch .LBB11_1076
.LBB11_957:
	s_mov_b64 s[8:9], 0
	s_mov_b64 s[4:5], -1
	s_branch .LBB11_1076
.LBB11_958:
	s_mov_b64 s[4:5], 0
	s_branch .LBB11_976
.LBB11_959:
	s_or_saveexec_b64 s[14:15], s[14:15]
                                        ; implicit-def: $sgpr17
	s_xor_b64 exec, exec, s[14:15]
	s_cbranch_execz .LBB11_784
.LBB11_960:
	s_mov_b32 s17, 0x46000000
	v_add_f32_e64 v5, |v4|, s17
	v_and_b32_e32 v5, 0xff, v5
	v_cmp_ne_u32_e32 vcc, 0, v5
	s_andn2_b64 s[12:13], s[12:13], exec
	s_and_b64 s[18:19], vcc, exec
	s_mov_b32 s17, 0
	s_or_b64 s[12:13], s[12:13], s[18:19]
	s_or_b64 exec, exec, s[14:15]
	v_mov_b32_e32 v6, s17
	s_and_saveexec_b64 s[14:15], s[12:13]
	s_cbranch_execnz .LBB11_785
	s_branch .LBB11_786
.LBB11_961:
	s_mov_b64 s[4:5], 0
	s_branch .LBB11_972
.LBB11_962:
	s_trap 2
	s_or_b64 s[6:7], s[6:7], exec
	s_cbranch_execz .LBB11_832
	s_branch .LBB11_833
.LBB11_963:
	s_or_saveexec_b64 s[12:13], s[12:13]
                                        ; implicit-def: $sgpr14
	s_xor_b64 exec, exec, s[12:13]
	s_cbranch_execz .LBB11_797
.LBB11_964:
	s_mov_b32 s14, 0x42800000
	v_add_f32_e64 v5, |v4|, s14
	v_and_b32_e32 v5, 0xff, v5
	v_cmp_ne_u32_e32 vcc, 0, v5
	s_andn2_b64 s[10:11], s[10:11], exec
	s_and_b64 s[18:19], vcc, exec
	s_mov_b32 s14, 0
	s_or_b64 s[10:11], s[10:11], s[18:19]
	s_or_b64 exec, exec, s[12:13]
	v_mov_b32_e32 v6, s14
	s_and_saveexec_b64 s[12:13], s[10:11]
	s_cbranch_execnz .LBB11_798
	s_branch .LBB11_799
.LBB11_965:
	s_mov_b64 s[4:5], 0
.LBB11_966:
	s_and_b64 vcc, exec, s[12:13]
	s_cbranch_vccz .LBB11_971
; %bb.967:
	v_mov_b32_e32 v4, 44
	v_cmp_eq_u16_sdwa s[12:13], s16, v4 src0_sel:BYTE_0 src1_sel:DWORD
	s_mov_b64 s[4:5], -1
	s_and_b64 vcc, exec, s[12:13]
	s_cbranch_vccz .LBB11_971
; %bb.968:
	v_cvt_f32_f64_e32 v4, v[24:25]
	v_bfe_u32 v5, v4, 23, 8
	s_movk_i32 s4, 0xff
	v_cmp_ne_u32_e32 vcc, s4, v5
	v_mov_b32_e32 v6, 0xff
	s_and_saveexec_b64 s[10:11], vcc
; %bb.969:
	s_mov_b32 s4, 0x3fffff
	v_lshrrev_b32_e32 v6, 23, v4
	v_and_b32_e32 v7, 0x400000, v4
	v_and_or_b32 v4, v4, s4, v5
	v_cmp_ne_u32_e32 vcc, 0, v7
	v_cmp_ne_u32_e64 s[4:5], 0, v4
	s_and_b64 s[4:5], vcc, s[4:5]
	v_cndmask_b32_e64 v4, 0, 1, s[4:5]
	v_add_u32_e32 v6, v6, v4
; %bb.970:
	s_or_b64 exec, exec, s[10:11]
	s_mov_b64 s[4:5], 0
	s_mov_b64 s[10:11], -1
	global_store_byte v[2:3], v6, off
.LBB11_971:
	s_mov_b64 s[12:13], 0
.LBB11_972:
	s_and_b64 vcc, exec, s[12:13]
	s_cbranch_vccz .LBB11_975
; %bb.973:
	v_mov_b32_e32 v4, 29
	v_cmp_eq_u16_sdwa s[12:13], s16, v4 src0_sel:BYTE_0 src1_sel:DWORD
	s_mov_b64 s[4:5], -1
	s_and_b64 vcc, exec, s[12:13]
	s_cbranch_vccz .LBB11_975
; %bb.974:
	v_trunc_f64_e32 v[4:5], v[24:25]
	s_movk_i32 s4, 0xffe0
	v_ldexp_f64 v[6:7], v[4:5], s4
	v_floor_f64_e32 v[6:7], v[6:7]
	v_fmac_f64_e32 v[4:5], 0xc1f00000, v[6:7]
	v_cvt_u32_f64_e32 v9, v[6:7]
	v_cvt_u32_f64_e32 v8, v[4:5]
	global_store_dwordx2 v[2:3], v[8:9], off
	s_mov_b64 s[4:5], 0
	s_mov_b64 s[10:11], -1
.LBB11_975:
	s_mov_b64 s[12:13], 0
.LBB11_976:
	s_and_b64 vcc, exec, s[12:13]
	s_cbranch_vccz .LBB11_992
; %bb.977:
	v_mov_b32_e32 v4, 27
	v_cmp_lt_i16_sdwa s[12:13], s16, v4 src0_sel:BYTE_0 src1_sel:DWORD
	s_mov_b64 s[10:11], -1
	s_and_b64 vcc, exec, s[12:13]
	s_cbranch_vccnz .LBB11_983
; %bb.978:
	v_cmp_gt_i16_sdwa s[12:13], s16, v4 src0_sel:BYTE_0 src1_sel:DWORD
	s_and_b64 vcc, exec, s[12:13]
	v_cvt_u32_f64_e32 v4, v[24:25]
	s_cbranch_vccz .LBB11_980
; %bb.979:
	s_mov_b64 s[10:11], 0
	global_store_dword v[2:3], v4, off
.LBB11_980:
	s_andn2_b64 vcc, exec, s[10:11]
	s_cbranch_vccnz .LBB11_982
; %bb.981:
	global_store_short v[2:3], v4, off
.LBB11_982:
	s_mov_b64 s[10:11], 0
.LBB11_983:
	s_andn2_b64 vcc, exec, s[10:11]
	s_cbranch_vccnz .LBB11_991
; %bb.984:
	v_cvt_f32_f64_e32 v4, v[24:25]
	v_and_b32_e32 v5, 0x7fffffff, v4
	s_mov_b32 s10, 0x43800000
	v_cmp_gt_u32_e32 vcc, s10, v5
	v_mov_b32_e32 v6, 0x80
	s_and_saveexec_b64 s[10:11], vcc
	s_cbranch_execz .LBB11_990
; %bb.985:
	s_mov_b32 s12, 0x3bffffff
	v_cmp_lt_u32_e32 vcc, s12, v5
	s_mov_b64 s[12:13], 0
                                        ; implicit-def: $vgpr5
	s_and_saveexec_b64 s[14:15], vcc
	s_xor_b64 s[14:15], exec, s[14:15]
	s_cbranch_execz .LBB11_1120
; %bb.986:
	v_bfe_u32 v5, v4, 20, 1
	s_mov_b32 s17, 0x487ffff
	v_add3_u32 v5, v4, v5, s17
	s_mov_b64 s[12:13], exec
	v_lshrrev_b32_e32 v5, 20, v5
	s_or_saveexec_b64 s[14:15], s[14:15]
                                        ; implicit-def: $sgpr17
	s_xor_b64 exec, exec, s[14:15]
	s_cbranch_execnz .LBB11_1121
.LBB11_987:
	s_or_b64 exec, exec, s[14:15]
	v_mov_b32_e32 v6, s17
	s_and_saveexec_b64 s[14:15], s[12:13]
.LBB11_988:
	v_lshrrev_b32_e32 v4, 24, v4
	s_movk_i32 s12, 0x80
	v_and_or_b32 v6, v4, s12, v5
.LBB11_989:
	s_or_b64 exec, exec, s[14:15]
.LBB11_990:
	s_or_b64 exec, exec, s[10:11]
	global_store_byte v[2:3], v6, off
.LBB11_991:
	s_mov_b64 s[10:11], -1
.LBB11_992:
	s_mov_b64 s[12:13], 0
.LBB11_993:
	s_and_b64 vcc, exec, s[12:13]
	s_cbranch_vccz .LBB11_1033
; %bb.994:
	v_mov_b32_e32 v4, 22
	v_cmp_gt_i16_sdwa s[12:13], s16, v4 src0_sel:BYTE_0 src1_sel:DWORD
	s_mov_b64 s[8:9], -1
	s_and_b64 vcc, exec, s[12:13]
	s_cbranch_vccz .LBB11_1026
; %bb.995:
	v_mov_b32_e32 v4, 24
	v_cmp_lt_i16_sdwa s[10:11], s16, v4 src0_sel:BYTE_0 src1_sel:DWORD
	s_and_b64 vcc, exec, s[10:11]
	s_cbranch_vccnz .LBB11_1015
; %bb.996:
	v_cmp_gt_i16_sdwa s[10:11], s16, v4 src0_sel:BYTE_0 src1_sel:DWORD
	s_and_b64 vcc, exec, s[10:11]
	s_cbranch_vccz .LBB11_1004
; %bb.997:
	v_cvt_f32_f64_e32 v4, v[24:25]
	v_and_b32_e32 v5, 0x7fffffff, v4
	s_mov_b32 s8, 0x47800000
	v_cmp_gt_u32_e32 vcc, s8, v5
	v_mov_b32_e32 v6, 0x80
	s_and_saveexec_b64 s[8:9], vcc
	s_cbranch_execz .LBB11_1003
; %bb.998:
	s_mov_b32 s10, 0x37ffffff
	v_cmp_lt_u32_e32 vcc, s10, v5
	s_mov_b64 s[10:11], 0
                                        ; implicit-def: $vgpr5
	s_and_saveexec_b64 s[12:13], vcc
	s_xor_b64 s[12:13], exec, s[12:13]
	s_cbranch_execz .LBB11_1127
; %bb.999:
	v_bfe_u32 v5, v4, 21, 1
	s_mov_b32 s14, 0x88fffff
	v_add3_u32 v5, v4, v5, s14
	s_mov_b64 s[10:11], exec
	v_lshrrev_b32_e32 v5, 21, v5
	s_or_saveexec_b64 s[12:13], s[12:13]
                                        ; implicit-def: $sgpr14
	s_xor_b64 exec, exec, s[12:13]
	s_cbranch_execnz .LBB11_1128
.LBB11_1000:
	s_or_b64 exec, exec, s[12:13]
	v_mov_b32_e32 v6, s14
	s_and_saveexec_b64 s[12:13], s[10:11]
.LBB11_1001:
	v_lshrrev_b32_e32 v4, 24, v4
	s_movk_i32 s10, 0x80
	v_and_or_b32 v6, v4, s10, v5
.LBB11_1002:
	s_or_b64 exec, exec, s[12:13]
.LBB11_1003:
	s_or_b64 exec, exec, s[8:9]
	s_mov_b64 s[8:9], 0
	global_store_byte v[2:3], v6, off
.LBB11_1004:
	s_and_b64 vcc, exec, s[8:9]
	s_cbranch_vccz .LBB11_1014
; %bb.1005:
	v_cvt_f32_f64_e32 v4, v[24:25]
	v_and_b32_e32 v6, 0x7fffffff, v4
	s_mov_b32 s8, 0x43f00000
	v_cmp_gt_u32_e32 vcc, s8, v6
                                        ; implicit-def: $vgpr5
	s_and_saveexec_b64 s[8:9], vcc
	s_xor_b64 s[8:9], exec, s[8:9]
	s_cbranch_execz .LBB11_1011
; %bb.1006:
	s_mov_b32 s10, 0x3c7fffff
	v_cmp_lt_u32_e32 vcc, s10, v6
                                        ; implicit-def: $vgpr5
	s_and_saveexec_b64 s[10:11], vcc
	s_xor_b64 s[10:11], exec, s[10:11]
; %bb.1007:
	v_bfe_u32 v5, v4, 20, 1
	s_mov_b32 s12, 0x407ffff
	v_add3_u32 v5, v4, v5, s12
	v_lshrrev_b32_e32 v6, 20, v5
	v_and_b32_e32 v5, 0xff00000, v5
	s_mov_b32 s12, 0x7f00000
	v_mov_b32_e32 v7, 0x7e
	v_cmp_ne_u32_e32 vcc, s12, v5
	v_cndmask_b32_e32 v5, v7, v6, vcc
; %bb.1008:
	s_andn2_saveexec_b64 s[10:11], s[10:11]
; %bb.1009:
	s_mov_b32 s12, 0x46800000
	v_add_f32_e64 v5, |v4|, s12
; %bb.1010:
	s_or_b64 exec, exec, s[10:11]
                                        ; implicit-def: $vgpr6
.LBB11_1011:
	s_andn2_saveexec_b64 s[8:9], s[8:9]
; %bb.1012:
	s_mov_b32 s10, 0x7f800000
	v_mov_b32_e32 v5, 0x7e
	v_mov_b32_e32 v7, 0x7f
	v_cmp_lt_u32_e32 vcc, s10, v6
	v_cndmask_b32_e32 v5, v5, v7, vcc
; %bb.1013:
	s_or_b64 exec, exec, s[8:9]
	v_lshrrev_b32_e32 v4, 24, v4
	s_movk_i32 s8, 0x80
	v_and_or_b32 v4, v4, s8, v5
	global_store_byte v[2:3], v4, off
.LBB11_1014:
	s_mov_b64 s[8:9], 0
.LBB11_1015:
	s_andn2_b64 vcc, exec, s[8:9]
	s_cbranch_vccnz .LBB11_1025
; %bb.1016:
	v_cvt_f32_f64_e32 v4, v[24:25]
	v_and_b32_e32 v6, 0x7fffffff, v4
	s_mov_b32 s8, 0x47800000
	v_cmp_gt_u32_e32 vcc, s8, v6
                                        ; implicit-def: $vgpr5
	s_and_saveexec_b64 s[8:9], vcc
	s_xor_b64 s[8:9], exec, s[8:9]
	s_cbranch_execz .LBB11_1022
; %bb.1017:
	s_mov_b32 s10, 0x387fffff
	v_cmp_lt_u32_e32 vcc, s10, v6
                                        ; implicit-def: $vgpr5
	s_and_saveexec_b64 s[10:11], vcc
	s_xor_b64 s[10:11], exec, s[10:11]
; %bb.1018:
	v_bfe_u32 v5, v4, 21, 1
	s_mov_b32 s12, 0x80fffff
	v_add3_u32 v5, v4, v5, s12
	v_lshrrev_b32_e32 v5, 21, v5
; %bb.1019:
	s_andn2_saveexec_b64 s[10:11], s[10:11]
; %bb.1020:
	s_mov_b32 s12, 0x43000000
	v_add_f32_e64 v5, |v4|, s12
; %bb.1021:
	s_or_b64 exec, exec, s[10:11]
                                        ; implicit-def: $vgpr6
.LBB11_1022:
	s_andn2_saveexec_b64 s[8:9], s[8:9]
; %bb.1023:
	s_mov_b32 s10, 0x7f800000
	v_mov_b32_e32 v5, 0x7c
	v_mov_b32_e32 v7, 0x7f
	v_cmp_lt_u32_e32 vcc, s10, v6
	v_cndmask_b32_e32 v5, v5, v7, vcc
; %bb.1024:
	s_or_b64 exec, exec, s[8:9]
	v_lshrrev_b32_e32 v4, 24, v4
	s_movk_i32 s8, 0x80
	v_and_or_b32 v4, v4, s8, v5
	global_store_byte v[2:3], v4, off
.LBB11_1025:
	s_mov_b64 s[8:9], 0
	s_mov_b64 s[10:11], -1
.LBB11_1026:
	s_andn2_b64 vcc, exec, s[8:9]
	s_mov_b64 s[8:9], 0
	s_cbranch_vccnz .LBB11_1033
; %bb.1027:
	v_mov_b32_e32 v4, 14
	v_cmp_gt_i16_sdwa s[8:9], s16, v4 src0_sel:BYTE_0 src1_sel:DWORD
	s_mov_b64 s[12:13], -1
	s_and_b64 vcc, exec, s[8:9]
	s_cbranch_vccz .LBB11_1031
; %bb.1028:
	v_mov_b32_e32 v4, 15
	v_cmp_eq_u16_sdwa s[8:9], s16, v4 src0_sel:BYTE_0 src1_sel:DWORD
	s_mov_b64 s[4:5], -1
	s_and_b64 vcc, exec, s[8:9]
	s_cbranch_vccz .LBB11_1030
; %bb.1029:
	v_cvt_f32_f64_e32 v4, v[24:25]
	v_bfe_u32 v5, v4, 16, 1
	s_movk_i32 s4, 0x7fff
	v_add3_u32 v5, v4, v5, s4
	v_lshrrev_b32_e32 v5, 16, v5
	v_mov_b32_e32 v6, 0x7fc0
	v_cmp_o_f32_e32 vcc, v4, v4
	v_cndmask_b32_e32 v4, v6, v5, vcc
	global_store_short v[2:3], v4, off
	s_mov_b64 s[4:5], 0
	s_mov_b64 s[10:11], -1
.LBB11_1030:
	s_mov_b64 s[12:13], 0
.LBB11_1031:
	s_mov_b64 s[8:9], 0
	s_and_b64 vcc, exec, s[12:13]
	s_cbranch_vccz .LBB11_1033
; %bb.1032:
	v_mov_b32_e32 v4, 11
	v_cmp_ne_u16_sdwa s[4:5], s16, v4 src0_sel:BYTE_0 src1_sel:DWORD
	s_mov_b64 s[8:9], -1
.LBB11_1033:
	s_and_b64 vcc, exec, s[4:5]
	s_cbranch_vccnz .LBB11_1122
; %bb.1034:
	s_andn2_b64 vcc, exec, s[8:9]
	s_cbranch_vccnz .LBB11_1036
.LBB11_1035:
	v_cmp_neq_f64_e32 vcc, 0, v[24:25]
	v_cndmask_b32_e64 v4, 0, 1, vcc
	s_mov_b64 s[10:11], -1
	global_store_byte v[2:3], v4, off
.LBB11_1036:
	s_branch .LBB11_880
.LBB11_1037:
	v_mov_b32_e32 v4, 5
	v_cmp_lt_i16_sdwa s[8:9], s16, v4 src0_sel:BYTE_0 src1_sel:DWORD
	s_mov_b64 s[4:5], -1
	s_and_b64 vcc, exec, s[8:9]
	s_cbranch_vccnz .LBB11_1058
; %bb.1038:
	v_mov_b32_e32 v4, 8
	v_cmp_lt_i16_sdwa s[8:9], s16, v4 src0_sel:BYTE_0 src1_sel:DWORD
	s_and_b64 vcc, exec, s[8:9]
	s_cbranch_vccnz .LBB11_1048
; %bb.1039:
	v_mov_b32_e32 v4, 9
	v_cmp_lt_i16_sdwa s[8:9], s16, v4 src0_sel:BYTE_0 src1_sel:DWORD
	s_and_b64 vcc, exec, s[8:9]
	s_cbranch_vccnz .LBB11_1045
; %bb.1040:
	v_cmp_gt_i16_sdwa s[8:9], s16, v4 src0_sel:BYTE_0 src1_sel:DWORD
	s_and_b64 vcc, exec, s[8:9]
	s_cbranch_vccz .LBB11_1042
; %bb.1041:
	v_mov_b32_e32 v26, 0
	v_mov_b32_e32 v27, v26
	global_store_dwordx4 v[2:3], v[24:27], off
	s_mov_b64 s[4:5], 0
.LBB11_1042:
	s_andn2_b64 vcc, exec, s[4:5]
	s_cbranch_vccnz .LBB11_1044
; %bb.1043:
	v_cvt_f32_f64_e32 v4, v[24:25]
	v_mov_b32_e32 v5, 0
	global_store_dwordx2 v[2:3], v[4:5], off
.LBB11_1044:
	s_mov_b64 s[4:5], 0
.LBB11_1045:
	s_andn2_b64 vcc, exec, s[4:5]
	s_cbranch_vccnz .LBB11_1047
; %bb.1046:
	v_cvt_f32_f64_e32 v4, v[24:25]
	v_cvt_f16_f32_e32 v4, v4
	global_store_dword v[2:3], v4, off
.LBB11_1047:
	s_mov_b64 s[4:5], 0
.LBB11_1048:
	s_andn2_b64 vcc, exec, s[4:5]
	s_cbranch_vccnz .LBB11_1057
; %bb.1049:
	v_mov_b32_e32 v4, 6
	v_cmp_lt_i16_sdwa s[8:9], s16, v4 src0_sel:BYTE_0 src1_sel:DWORD
	s_mov_b64 s[4:5], -1
	s_and_b64 vcc, exec, s[8:9]
	s_cbranch_vccnz .LBB11_1055
; %bb.1050:
	v_cmp_gt_i16_sdwa s[8:9], s16, v4 src0_sel:BYTE_0 src1_sel:DWORD
	s_and_b64 vcc, exec, s[8:9]
	s_cbranch_vccz .LBB11_1052
; %bb.1051:
	global_store_dwordx2 v[2:3], v[24:25], off
	s_mov_b64 s[4:5], 0
.LBB11_1052:
	s_andn2_b64 vcc, exec, s[4:5]
	s_cbranch_vccnz .LBB11_1054
; %bb.1053:
	v_cvt_f32_f64_e32 v4, v[24:25]
	global_store_dword v[2:3], v4, off
.LBB11_1054:
	s_mov_b64 s[4:5], 0
.LBB11_1055:
	s_andn2_b64 vcc, exec, s[4:5]
	s_cbranch_vccnz .LBB11_1057
; %bb.1056:
	v_cvt_f32_f64_e32 v4, v[24:25]
	v_cvt_f16_f32_e32 v4, v4
	global_store_short v[2:3], v4, off
.LBB11_1057:
	s_mov_b64 s[4:5], 0
.LBB11_1058:
	s_andn2_b64 vcc, exec, s[4:5]
	s_cbranch_vccnz .LBB11_1074
; %bb.1059:
	v_mov_b32_e32 v4, 2
	v_cmp_lt_i16_sdwa s[8:9], s16, v4 src0_sel:BYTE_0 src1_sel:DWORD
	s_mov_b64 s[4:5], -1
	s_and_b64 vcc, exec, s[8:9]
	s_cbranch_vccnz .LBB11_1069
; %bb.1060:
	v_mov_b32_e32 v4, 3
	v_cmp_lt_i16_sdwa s[8:9], s16, v4 src0_sel:BYTE_0 src1_sel:DWORD
	s_and_b64 vcc, exec, s[8:9]
	s_cbranch_vccnz .LBB11_1066
; %bb.1061:
	v_cmp_gt_i16_sdwa s[8:9], s16, v4 src0_sel:BYTE_0 src1_sel:DWORD
	s_and_b64 vcc, exec, s[8:9]
	s_cbranch_vccz .LBB11_1063
; %bb.1062:
	v_trunc_f64_e32 v[4:5], v[24:25]
	s_movk_i32 s4, 0xffe0
	v_ldexp_f64 v[6:7], v[4:5], s4
	v_floor_f64_e32 v[6:7], v[6:7]
	v_fmac_f64_e32 v[4:5], 0xc1f00000, v[6:7]
	v_cvt_i32_f64_e32 v9, v[6:7]
	v_cvt_u32_f64_e32 v8, v[4:5]
	global_store_dwordx2 v[2:3], v[8:9], off
	s_mov_b64 s[4:5], 0
.LBB11_1063:
	s_andn2_b64 vcc, exec, s[4:5]
	s_cbranch_vccnz .LBB11_1065
; %bb.1064:
	v_cvt_i32_f64_e32 v4, v[24:25]
	global_store_dword v[2:3], v4, off
.LBB11_1065:
	s_mov_b64 s[4:5], 0
.LBB11_1066:
	s_andn2_b64 vcc, exec, s[4:5]
	s_cbranch_vccnz .LBB11_1068
; %bb.1067:
	v_cvt_i32_f64_e32 v4, v[24:25]
	global_store_short v[2:3], v4, off
.LBB11_1068:
	s_mov_b64 s[4:5], 0
.LBB11_1069:
	s_andn2_b64 vcc, exec, s[4:5]
	s_cbranch_vccnz .LBB11_1074
; %bb.1070:
	v_mov_b32_e32 v4, 0
	v_cmp_gt_i16_sdwa s[8:9], s16, v4 src0_sel:BYTE_0 src1_sel:DWORD
	s_mov_b64 s[4:5], -1
	s_and_b64 vcc, exec, s[8:9]
	s_cbranch_vccz .LBB11_1072
; %bb.1071:
	v_cvt_i32_f64_e32 v4, v[24:25]
	global_store_byte v[2:3], v4, off
	s_mov_b64 s[4:5], 0
.LBB11_1072:
	s_andn2_b64 vcc, exec, s[4:5]
	s_cbranch_vccnz .LBB11_1074
; %bb.1073:
	v_trunc_f64_e32 v[4:5], v[24:25]
	s_movk_i32 s4, 0xffe0
	v_ldexp_f64 v[6:7], v[4:5], s4
	v_floor_f64_e32 v[6:7], v[6:7]
	v_fmac_f64_e32 v[4:5], 0xc1f00000, v[6:7]
	v_cvt_u32_f64_e32 v4, v[4:5]
	global_store_byte v[2:3], v4, off
.LBB11_1074:
	s_branch .LBB11_881
.LBB11_1075:
	s_mov_b64 s[4:5], 0
	s_mov_b64 s[8:9], 0
                                        ; implicit-def: $vgpr7
                                        ; implicit-def: $vgpr4_vgpr5
.LBB11_1076:
	s_and_b64 s[48:49], s[8:9], exec
	s_andn2_b64 s[8:9], s[40:41], exec
	s_and_b64 s[6:7], s[6:7], exec
	s_and_b64 s[4:5], s[4:5], exec
	s_or_b64 s[40:41], s[8:9], s[6:7]
.LBB11_1077:
	s_or_b64 exec, exec, s[42:43]
	s_and_saveexec_b64 s[6:7], s[40:41]
	s_cbranch_execz .LBB11_1080
; %bb.1078:
	; divergent unreachable
	s_or_b64 exec, exec, s[6:7]
	s_and_saveexec_b64 s[6:7], s[48:49]
	s_xor_b64 s[6:7], exec, s[6:7]
	s_cbranch_execnz .LBB11_1081
.LBB11_1079:
	s_or_b64 exec, exec, s[6:7]
	s_and_saveexec_b64 s[6:7], s[4:5]
	s_cbranch_execnz .LBB11_1082
	s_branch .LBB11_1119
.LBB11_1080:
	s_or_b64 exec, exec, s[6:7]
	s_and_saveexec_b64 s[6:7], s[48:49]
	s_xor_b64 s[6:7], exec, s[6:7]
	s_cbranch_execz .LBB11_1079
.LBB11_1081:
	v_cmp_neq_f64_e32 vcc, 0, v[0:1]
	v_cndmask_b32_e64 v2, 0, 1, vcc
	global_store_byte v[4:5], v2, off
	s_or_b64 exec, exec, s[6:7]
	s_and_saveexec_b64 s[6:7], s[4:5]
	s_cbranch_execz .LBB11_1119
.LBB11_1082:
	v_cmp_gt_i16_e32 vcc, 5, v7
	s_mov_b64 s[4:5], -1
	s_cbranch_vccnz .LBB11_1103
; %bb.1083:
	v_cmp_gt_i16_e32 vcc, 8, v7
	s_cbranch_vccnz .LBB11_1093
; %bb.1084:
	v_cmp_gt_i16_e32 vcc, 9, v7
	s_cbranch_vccnz .LBB11_1090
; %bb.1085:
	v_cmp_lt_i16_e32 vcc, 9, v7
	s_cbranch_vccz .LBB11_1087
; %bb.1086:
	v_mov_b32_e32 v2, 0
	v_mov_b32_e32 v3, v2
	global_store_dwordx4 v[4:5], v[0:3], off
	s_mov_b64 s[4:5], 0
.LBB11_1087:
	s_andn2_b64 vcc, exec, s[4:5]
	s_cbranch_vccnz .LBB11_1089
; %bb.1088:
	v_cvt_f32_f64_e32 v2, v[0:1]
	v_mov_b32_e32 v3, 0
	global_store_dwordx2 v[4:5], v[2:3], off
.LBB11_1089:
	s_mov_b64 s[4:5], 0
.LBB11_1090:
	s_andn2_b64 vcc, exec, s[4:5]
	s_cbranch_vccnz .LBB11_1092
; %bb.1091:
	v_cvt_f32_f64_e32 v2, v[0:1]
	v_cvt_f16_f32_e32 v2, v2
	global_store_dword v[4:5], v2, off
.LBB11_1092:
	s_mov_b64 s[4:5], 0
.LBB11_1093:
	s_andn2_b64 vcc, exec, s[4:5]
	s_cbranch_vccnz .LBB11_1102
; %bb.1094:
	v_cmp_gt_i16_e32 vcc, 6, v7
	s_mov_b64 s[4:5], -1
	s_cbranch_vccnz .LBB11_1100
; %bb.1095:
	v_cmp_lt_i16_e32 vcc, 6, v7
	s_cbranch_vccz .LBB11_1097
; %bb.1096:
	global_store_dwordx2 v[4:5], v[0:1], off
	s_mov_b64 s[4:5], 0
.LBB11_1097:
	s_andn2_b64 vcc, exec, s[4:5]
	s_cbranch_vccnz .LBB11_1099
; %bb.1098:
	v_cvt_f32_f64_e32 v2, v[0:1]
	global_store_dword v[4:5], v2, off
.LBB11_1099:
	s_mov_b64 s[4:5], 0
.LBB11_1100:
	s_andn2_b64 vcc, exec, s[4:5]
	s_cbranch_vccnz .LBB11_1102
; %bb.1101:
	v_cvt_f32_f64_e32 v2, v[0:1]
	v_cvt_f16_f32_e32 v2, v2
	global_store_short v[4:5], v2, off
.LBB11_1102:
	s_mov_b64 s[4:5], 0
.LBB11_1103:
	s_andn2_b64 vcc, exec, s[4:5]
	s_cbranch_vccnz .LBB11_1119
; %bb.1104:
	v_cmp_gt_i16_e32 vcc, 2, v7
	s_mov_b64 s[4:5], -1
	s_cbranch_vccnz .LBB11_1114
; %bb.1105:
	v_cmp_gt_i16_e32 vcc, 3, v7
	s_cbranch_vccnz .LBB11_1111
; %bb.1106:
	v_cmp_lt_i16_e32 vcc, 3, v7
	s_cbranch_vccz .LBB11_1108
; %bb.1107:
	v_trunc_f64_e32 v[2:3], v[0:1]
	s_movk_i32 s4, 0xffe0
	v_ldexp_f64 v[8:9], v[2:3], s4
	v_floor_f64_e32 v[8:9], v[8:9]
	v_fmac_f64_e32 v[2:3], 0xc1f00000, v[8:9]
	v_cvt_i32_f64_e32 v11, v[8:9]
	v_cvt_u32_f64_e32 v10, v[2:3]
	global_store_dwordx2 v[4:5], v[10:11], off
	s_mov_b64 s[4:5], 0
.LBB11_1108:
	s_andn2_b64 vcc, exec, s[4:5]
	s_cbranch_vccnz .LBB11_1110
; %bb.1109:
	v_cvt_i32_f64_e32 v2, v[0:1]
	global_store_dword v[4:5], v2, off
.LBB11_1110:
	s_mov_b64 s[4:5], 0
.LBB11_1111:
	s_andn2_b64 vcc, exec, s[4:5]
	s_cbranch_vccnz .LBB11_1113
; %bb.1112:
	v_cvt_i32_f64_e32 v2, v[0:1]
	global_store_short v[4:5], v2, off
.LBB11_1113:
	s_mov_b64 s[4:5], 0
.LBB11_1114:
	s_andn2_b64 vcc, exec, s[4:5]
	s_cbranch_vccnz .LBB11_1119
; %bb.1115:
	v_cmp_lt_i16_e32 vcc, 0, v7
	s_mov_b64 s[4:5], -1
	s_cbranch_vccz .LBB11_1117
; %bb.1116:
	v_cvt_i32_f64_e32 v2, v[0:1]
	global_store_byte v[4:5], v2, off
	s_mov_b64 s[4:5], 0
.LBB11_1117:
	s_andn2_b64 vcc, exec, s[4:5]
	s_cbranch_vccnz .LBB11_1119
; %bb.1118:
	v_trunc_f64_e32 v[0:1], v[0:1]
	s_movk_i32 s4, 0xffe0
	v_ldexp_f64 v[2:3], v[0:1], s4
	v_floor_f64_e32 v[2:3], v[2:3]
	v_fmac_f64_e32 v[0:1], 0xc1f00000, v[2:3]
	v_cvt_u32_f64_e32 v0, v[0:1]
	global_store_byte v[4:5], v0, off
	s_endpgm
.LBB11_1119:
	s_endpgm
.LBB11_1120:
	s_or_saveexec_b64 s[14:15], s[14:15]
                                        ; implicit-def: $sgpr17
	s_xor_b64 exec, exec, s[14:15]
	s_cbranch_execz .LBB11_987
.LBB11_1121:
	s_mov_b32 s17, 0x46000000
	v_add_f32_e64 v5, |v4|, s17
	v_and_b32_e32 v5, 0xff, v5
	v_cmp_ne_u32_e32 vcc, 0, v5
	s_andn2_b64 s[12:13], s[12:13], exec
	s_and_b64 s[18:19], vcc, exec
	s_mov_b32 s17, 0
	s_or_b64 s[12:13], s[12:13], s[18:19]
	s_or_b64 exec, exec, s[14:15]
	v_mov_b32_e32 v6, s17
	s_and_saveexec_b64 s[14:15], s[12:13]
	s_cbranch_execnz .LBB11_988
	s_branch .LBB11_989
.LBB11_1122:
	s_trap 2
	s_or_b64 s[6:7], s[6:7], exec
	s_cbranch_execz .LBB11_1035
	s_branch .LBB11_1036
.LBB11_1123:
	s_or_saveexec_b64 s[10:11], s[10:11]
                                        ; implicit-def: $sgpr12
	s_xor_b64 exec, exec, s[10:11]
	s_cbranch_execz .LBB11_341
.LBB11_1124:
	s_mov_b32 s12, 0x46000000
	v_add_f32_e64 v3, |v2|, s12
	v_and_b32_e32 v3, 0xff, v3
	v_cmp_ne_u32_e32 vcc, 0, v3
	s_andn2_b64 s[8:9], s[8:9], exec
	s_and_b64 s[14:15], vcc, exec
	s_mov_b32 s12, 0
	s_or_b64 s[8:9], s[8:9], s[14:15]
	s_or_b64 exec, exec, s[10:11]
	v_mov_b32_e32 v6, s12
	s_and_saveexec_b64 s[10:11], s[8:9]
	s_cbranch_execnz .LBB11_342
	s_branch .LBB11_343
.LBB11_1125:
	s_or_saveexec_b64 s[14:15], s[14:15]
                                        ; implicit-def: $sgpr16
	s_xor_b64 exec, exec, s[14:15]
	s_cbranch_execz .LBB11_910
.LBB11_1126:
	s_mov_b32 s16, 0x46000000
	v_add_f32_e64 v3, |v2|, s16
	v_and_b32_e32 v3, 0xff, v3
	v_cmp_ne_u32_e32 vcc, 0, v3
	s_andn2_b64 s[12:13], s[12:13], exec
	s_and_b64 s[18:19], vcc, exec
	s_mov_b32 s16, 0
	s_or_b64 s[12:13], s[12:13], s[18:19]
	s_or_b64 exec, exec, s[14:15]
	v_mov_b32_e32 v6, s16
	s_and_saveexec_b64 s[14:15], s[12:13]
	s_cbranch_execnz .LBB11_911
	s_branch .LBB11_912
.LBB11_1127:
	s_or_saveexec_b64 s[12:13], s[12:13]
                                        ; implicit-def: $sgpr14
	s_xor_b64 exec, exec, s[12:13]
	s_cbranch_execz .LBB11_1000
.LBB11_1128:
	s_mov_b32 s14, 0x42800000
	v_add_f32_e64 v5, |v4|, s14
	v_and_b32_e32 v5, 0xff, v5
	v_cmp_ne_u32_e32 vcc, 0, v5
	s_andn2_b64 s[10:11], s[10:11], exec
	s_and_b64 s[18:19], vcc, exec
	s_mov_b32 s14, 0
	s_or_b64 s[10:11], s[10:11], s[18:19]
	s_or_b64 exec, exec, s[12:13]
	v_mov_b32_e32 v6, s14
	s_and_saveexec_b64 s[12:13], s[10:11]
	s_cbranch_execnz .LBB11_1001
	s_branch .LBB11_1002
.LBB11_1129:
	s_mov_b64 s[8:9], 0
	s_or_b64 s[6:7], s[6:7], exec
	s_trap 2
	s_branch .LBB11_956
.LBB11_1130:
	s_or_saveexec_b64 s[10:11], s[10:11]
                                        ; implicit-def: $sgpr12
	s_xor_b64 exec, exec, s[10:11]
	s_cbranch_execz .LBB11_354
.LBB11_1131:
	s_mov_b32 s12, 0x42800000
	v_add_f32_e64 v3, |v2|, s12
	v_and_b32_e32 v3, 0xff, v3
	v_cmp_ne_u32_e32 vcc, 0, v3
	s_andn2_b64 s[8:9], s[8:9], exec
	s_and_b64 s[14:15], vcc, exec
	s_mov_b32 s12, 0
	s_or_b64 s[8:9], s[8:9], s[14:15]
	s_or_b64 exec, exec, s[10:11]
	v_mov_b32_e32 v6, s12
	s_and_saveexec_b64 s[10:11], s[8:9]
	s_cbranch_execnz .LBB11_355
	s_branch .LBB11_356
.LBB11_1132:
	s_or_saveexec_b64 s[10:11], s[10:11]
                                        ; implicit-def: $sgpr12
	s_xor_b64 exec, exec, s[10:11]
	s_cbranch_execz .LBB11_479
.LBB11_1133:
	s_mov_b32 s12, 0x46000000
	v_add_f32_e64 v3, |v2|, s12
	v_and_b32_e32 v3, 0xff, v3
	v_cmp_ne_u32_e32 vcc, 0, v3
	s_andn2_b64 s[8:9], s[8:9], exec
	s_and_b64 s[14:15], vcc, exec
	s_mov_b32 s12, 0
	s_or_b64 s[8:9], s[8:9], s[14:15]
	s_or_b64 exec, exec, s[10:11]
	v_mov_b32_e32 v7, s12
	s_and_saveexec_b64 s[10:11], s[8:9]
	s_cbranch_execnz .LBB11_480
	s_branch .LBB11_481
.LBB11_1134:
	s_or_saveexec_b64 s[12:13], s[12:13]
                                        ; implicit-def: $sgpr14
	s_xor_b64 exec, exec, s[12:13]
	s_cbranch_execz .LBB11_922
.LBB11_1135:
	s_mov_b32 s14, 0x42800000
	v_add_f32_e64 v3, |v2|, s14
	v_and_b32_e32 v3, 0xff, v3
	v_cmp_ne_u32_e32 vcc, 0, v3
	s_andn2_b64 s[10:11], s[10:11], exec
	s_and_b64 s[16:17], vcc, exec
	s_mov_b32 s14, 0
	s_or_b64 s[10:11], s[10:11], s[16:17]
	s_or_b64 exec, exec, s[12:13]
	v_mov_b32_e32 v6, s14
	s_and_saveexec_b64 s[12:13], s[10:11]
	s_cbranch_execnz .LBB11_923
	s_branch .LBB11_924
.LBB11_1136:
	s_or_saveexec_b64 s[12:13], s[12:13]
                                        ; implicit-def: $sgpr14
	s_xor_b64 exec, exec, s[12:13]
	s_cbranch_execz .LBB11_491
.LBB11_1137:
	s_mov_b32 s14, 0x42800000
	v_add_f32_e64 v3, |v2|, s14
	v_and_b32_e32 v3, 0xff, v3
	v_cmp_ne_u32_e32 vcc, 0, v3
	s_andn2_b64 s[10:11], s[10:11], exec
	s_and_b64 s[16:17], vcc, exec
	s_mov_b32 s14, 0
	s_or_b64 s[10:11], s[10:11], s[16:17]
	s_or_b64 exec, exec, s[12:13]
	v_mov_b32_e32 v7, s14
	s_and_saveexec_b64 s[12:13], s[10:11]
	s_cbranch_execnz .LBB11_492
	s_branch .LBB11_493
	.section	.rodata,"a",@progbits
	.p2align	6, 0x0
	.amdhsa_kernel _ZN2at6native32elementwise_kernel_manual_unrollILi128ELi4EZNS0_15gpu_kernel_implIZZZNS0_12_GLOBAL__N_137scaled_modified_bessel_k0_kernel_cudaERNS_18TensorIteratorBaseEENKUlvE_clEvENKUlvE_clEvEUldE_EEvS5_RKT_EUlibE0_EEviT1_
		.amdhsa_group_segment_fixed_size 0
		.amdhsa_private_segment_fixed_size 0
		.amdhsa_kernarg_size 360
		.amdhsa_user_sgpr_count 8
		.amdhsa_user_sgpr_private_segment_buffer 1
		.amdhsa_user_sgpr_dispatch_ptr 0
		.amdhsa_user_sgpr_queue_ptr 0
		.amdhsa_user_sgpr_kernarg_segment_ptr 1
		.amdhsa_user_sgpr_dispatch_id 0
		.amdhsa_user_sgpr_flat_scratch_init 1
		.amdhsa_user_sgpr_kernarg_preload_length 0
		.amdhsa_user_sgpr_kernarg_preload_offset 0
		.amdhsa_user_sgpr_private_segment_size 0
		.amdhsa_uses_dynamic_stack 0
		.amdhsa_system_sgpr_private_segment_wavefront_offset 0
		.amdhsa_system_sgpr_workgroup_id_x 1
		.amdhsa_system_sgpr_workgroup_id_y 0
		.amdhsa_system_sgpr_workgroup_id_z 0
		.amdhsa_system_sgpr_workgroup_info 0
		.amdhsa_system_vgpr_workitem_id 0
		.amdhsa_next_free_vgpr 42
		.amdhsa_next_free_sgpr 78
		.amdhsa_accum_offset 44
		.amdhsa_reserve_vcc 1
		.amdhsa_reserve_flat_scratch 1
		.amdhsa_float_round_mode_32 0
		.amdhsa_float_round_mode_16_64 0
		.amdhsa_float_denorm_mode_32 3
		.amdhsa_float_denorm_mode_16_64 3
		.amdhsa_dx10_clamp 1
		.amdhsa_ieee_mode 1
		.amdhsa_fp16_overflow 0
		.amdhsa_tg_split 0
		.amdhsa_exception_fp_ieee_invalid_op 0
		.amdhsa_exception_fp_denorm_src 0
		.amdhsa_exception_fp_ieee_div_zero 0
		.amdhsa_exception_fp_ieee_overflow 0
		.amdhsa_exception_fp_ieee_underflow 0
		.amdhsa_exception_fp_ieee_inexact 0
		.amdhsa_exception_int_div_zero 0
	.end_amdhsa_kernel
	.section	.text._ZN2at6native32elementwise_kernel_manual_unrollILi128ELi4EZNS0_15gpu_kernel_implIZZZNS0_12_GLOBAL__N_137scaled_modified_bessel_k0_kernel_cudaERNS_18TensorIteratorBaseEENKUlvE_clEvENKUlvE_clEvEUldE_EEvS5_RKT_EUlibE0_EEviT1_,"axG",@progbits,_ZN2at6native32elementwise_kernel_manual_unrollILi128ELi4EZNS0_15gpu_kernel_implIZZZNS0_12_GLOBAL__N_137scaled_modified_bessel_k0_kernel_cudaERNS_18TensorIteratorBaseEENKUlvE_clEvENKUlvE_clEvEUldE_EEvS5_RKT_EUlibE0_EEviT1_,comdat
.Lfunc_end11:
	.size	_ZN2at6native32elementwise_kernel_manual_unrollILi128ELi4EZNS0_15gpu_kernel_implIZZZNS0_12_GLOBAL__N_137scaled_modified_bessel_k0_kernel_cudaERNS_18TensorIteratorBaseEENKUlvE_clEvENKUlvE_clEvEUldE_EEvS5_RKT_EUlibE0_EEviT1_, .Lfunc_end11-_ZN2at6native32elementwise_kernel_manual_unrollILi128ELi4EZNS0_15gpu_kernel_implIZZZNS0_12_GLOBAL__N_137scaled_modified_bessel_k0_kernel_cudaERNS_18TensorIteratorBaseEENKUlvE_clEvENKUlvE_clEvEUldE_EEvS5_RKT_EUlibE0_EEviT1_
                                        ; -- End function
	.section	.AMDGPU.csdata,"",@progbits
; Kernel info:
; codeLenInByte = 23964
; NumSgprs: 84
; NumVgprs: 42
; NumAgprs: 0
; TotalNumVgprs: 42
; ScratchSize: 0
; MemoryBound: 0
; FloatMode: 240
; IeeeMode: 1
; LDSByteSize: 0 bytes/workgroup (compile time only)
; SGPRBlocks: 10
; VGPRBlocks: 5
; NumSGPRsForWavesPerEU: 84
; NumVGPRsForWavesPerEU: 42
; AccumOffset: 44
; Occupancy: 8
; WaveLimiterHint : 1
; COMPUTE_PGM_RSRC2:SCRATCH_EN: 0
; COMPUTE_PGM_RSRC2:USER_SGPR: 8
; COMPUTE_PGM_RSRC2:TRAP_HANDLER: 0
; COMPUTE_PGM_RSRC2:TGID_X_EN: 1
; COMPUTE_PGM_RSRC2:TGID_Y_EN: 0
; COMPUTE_PGM_RSRC2:TGID_Z_EN: 0
; COMPUTE_PGM_RSRC2:TIDIG_COMP_CNT: 0
; COMPUTE_PGM_RSRC3_GFX90A:ACCUM_OFFSET: 10
; COMPUTE_PGM_RSRC3_GFX90A:TG_SPLIT: 0
	.text
	.p2align	2                               ; -- Begin function _ZN2at6native25elementwise_kernel_helperILb0EZZZNS0_12_GLOBAL__N_137scaled_modified_bessel_k0_kernel_cudaERNS_18TensorIteratorBaseEENKUlvE_clEvENKUlvE0_clEvEUlfE_NS0_6memory8policies11unroll_baseILi256ESt5arrayIPcLm2EE23TrivialOffsetCalculatorILi1EjESF_NS8_15LoadWithoutCastENS8_16StoreWithoutCastELi4ELi1EEEEEvT0_T1_
	.type	_ZN2at6native25elementwise_kernel_helperILb0EZZZNS0_12_GLOBAL__N_137scaled_modified_bessel_k0_kernel_cudaERNS_18TensorIteratorBaseEENKUlvE_clEvENKUlvE0_clEvEUlfE_NS0_6memory8policies11unroll_baseILi256ESt5arrayIPcLm2EE23TrivialOffsetCalculatorILi1EjESF_NS8_15LoadWithoutCastENS8_16StoreWithoutCastELi4ELi1EEEEEvT0_T1_,@function
_ZN2at6native25elementwise_kernel_helperILb0EZZZNS0_12_GLOBAL__N_137scaled_modified_bessel_k0_kernel_cudaERNS_18TensorIteratorBaseEENKUlvE_clEvENKUlvE0_clEvEUlfE_NS0_6memory8policies11unroll_baseILi256ESt5arrayIPcLm2EE23TrivialOffsetCalculatorILi1EjESF_NS8_15LoadWithoutCastENS8_16StoreWithoutCastELi4ELi1EEEEEvT0_T1_: ; @_ZN2at6native25elementwise_kernel_helperILb0EZZZNS0_12_GLOBAL__N_137scaled_modified_bessel_k0_kernel_cudaERNS_18TensorIteratorBaseEENKUlvE_clEvENKUlvE0_clEvEUlfE_NS0_6memory8policies11unroll_baseILi256ESt5arrayIPcLm2EE23TrivialOffsetCalculatorILi1EjESF_NS8_15LoadWithoutCastENS8_16StoreWithoutCastELi4ELi1EEEEEvT0_T1_
; %bb.0:
	s_waitcnt vmcnt(0) expcnt(0) lgkmcnt(0)
	v_and_b32_e32 v5, 0x3ff, v31
	s_lshl_b32 s18, s12, 10
	v_cmp_lt_i32_e64 s[4:5], v5, v4
	v_mov_b32_e32 v13, 0
	v_or_b32_e32 v10, s18, v5
	v_mov_b32_e32 v14, 0
	v_mov_b32_e32 v6, v5
	s_and_saveexec_b64 s[6:7], s[4:5]
	s_cbranch_execz .LBB12_2
; %bb.1:
	v_mov_b32_e32 v11, 0
	v_lshlrev_b64 v[6:7], 2, v[10:11]
	v_add_co_u32_e32 v6, vcc, v2, v6
	v_addc_co_u32_e32 v7, vcc, v3, v7, vcc
	flat_load_dword v14, v[6:7]
	v_add_u32_e32 v6, 0x100, v5
.LBB12_2:
	s_or_b64 exec, exec, s[6:7]
	v_cmp_lt_i32_e32 vcc, v6, v4
	s_and_saveexec_b64 s[6:7], vcc
	s_cbranch_execz .LBB12_4
; %bb.3:
	v_add_u32_e32 v8, s18, v6
	v_mov_b32_e32 v9, 0
	v_lshlrev_b64 v[8:9], 2, v[8:9]
	v_add_co_u32_e32 v8, vcc, v2, v8
	v_addc_co_u32_e32 v9, vcc, v3, v9, vcc
	flat_load_dword v13, v[8:9]
	v_add_u32_e32 v6, 0x100, v6
.LBB12_4:
	s_or_b64 exec, exec, s[6:7]
	v_cmp_lt_i32_e32 vcc, v6, v4
	v_mov_b32_e32 v11, 0
	v_mov_b32_e32 v12, 0
	s_and_saveexec_b64 s[6:7], vcc
	s_cbranch_execnz .LBB12_7
; %bb.5:
	s_or_b64 exec, exec, s[6:7]
	v_cmp_lt_i32_e32 vcc, v6, v4
	s_and_saveexec_b64 s[6:7], vcc
	s_cbranch_execnz .LBB12_8
.LBB12_6:
	s_or_b64 exec, exec, s[6:7]
                                        ; implicit-def: $vgpr6_vgpr7_vgpr8_vgpr9
	s_and_saveexec_b64 s[8:9], s[4:5]
	s_cbranch_execnz .LBB12_9
	s_branch .LBB12_22
.LBB12_7:
	v_add_u32_e32 v8, s18, v6
	v_mov_b32_e32 v9, 0
	v_lshlrev_b64 v[8:9], 2, v[8:9]
	v_add_co_u32_e32 v8, vcc, v2, v8
	v_addc_co_u32_e32 v9, vcc, v3, v9, vcc
	flat_load_dword v12, v[8:9]
	v_add_u32_e32 v6, 0x100, v6
	s_or_b64 exec, exec, s[6:7]
	v_cmp_lt_i32_e32 vcc, v6, v4
	s_and_saveexec_b64 s[6:7], vcc
	s_cbranch_execz .LBB12_6
.LBB12_8:
	v_add_u32_e32 v6, s18, v6
	v_mov_b32_e32 v7, 0
	v_lshlrev_b64 v[6:7], 2, v[6:7]
	v_add_co_u32_e32 v2, vcc, v2, v6
	v_addc_co_u32_e32 v3, vcc, v3, v7, vcc
	flat_load_dword v11, v[2:3]
	s_or_b64 exec, exec, s[6:7]
                                        ; implicit-def: $vgpr6_vgpr7_vgpr8_vgpr9
	s_and_saveexec_b64 s[8:9], s[4:5]
	s_cbranch_execz .LBB12_22
.LBB12_9:
	s_waitcnt vmcnt(0) lgkmcnt(0)
	v_cmp_neq_f32_e32 vcc, 0, v14
	v_mov_b32_e32 v6, 0x7f800000
	s_and_saveexec_b64 s[10:11], vcc
	s_cbranch_execz .LBB12_21
; %bb.10:
	v_cmp_ngt_f32_e32 vcc, 0, v14
	v_mov_b32_e32 v6, 0x7fc00000
	s_and_saveexec_b64 s[12:13], vcc
	s_cbranch_execz .LBB12_20
; %bb.11:
	v_cmp_ge_f32_e32 vcc, 2.0, v14
                                        ; implicit-def: $vgpr6
	s_and_saveexec_b64 s[6:7], vcc
	s_xor_b64 s[14:15], exec, s[6:7]
	s_cbranch_execz .LBB12_17
; %bb.12:
	s_mov_b32 s6, 0x41000000
	v_mul_f32_e32 v2, 0.5, v14
	v_cmp_ge_f32_e32 vcc, s6, v14
                                        ; implicit-def: $vgpr6
                                        ; implicit-def: $vgpr3
	s_and_saveexec_b64 s[6:7], vcc
	s_xor_b64 s[6:7], exec, s[6:7]
	s_cbranch_execz .LBB12_14
; %bb.13:
	v_add_f32_e32 v3, -2.0, v2
	v_mov_b32_e32 v6, 0x24199b15
	v_fmac_f32_e32 v6, 0xa2a2e5b9, v3
	v_mov_b32_e32 v7, 0x22a2e5b9
	v_fmac_f32_e32 v7, v3, v6
	v_add_f32_e32 v7, 0xa58c275c, v7
	v_fma_f32 v6, v3, v7, -v6
	v_add_f32_e32 v6, 0x26f736c5, v6
	v_fma_f32 v7, v3, v6, -v7
	;; [unrolled: 2-line block ×23, first 2 shown]
	v_mul_f32_e32 v8, 0x3fb8aa3b, v14
	v_add_f32_e32 v6, 0x3d49f456, v6
	s_mov_b32 s16, 0x3fb8aa3b
	v_rndne_f32_e32 v9, v8
	v_fma_f32 v7, v3, v6, -v7
	v_sub_f32_e32 v15, v8, v9
	v_fma_f32 v8, v14, s16, -v8
	v_add_f32_e32 v7, 0xbdc25b82, v7
	v_fmac_f32_e32 v8, 0x32a5705f, v14
	v_fma_f32 v6, v3, v7, -v6
	v_add_f32_e32 v8, v15, v8
	v_add_f32_e32 v6, 0x3e2fbd64, v6
	v_exp_f32_e32 v8, v8
	v_cvt_i32_f32_e32 v9, v9
	v_fma_f32 v7, v3, v6, -v7
	v_add_f32_e32 v7, 0xbe9bff5e, v7
	v_fma_f32 v3, v3, v7, -v6
	s_mov_b32 s16, 0xc2ce8ed0
	v_add_f32_e32 v7, 0x3f2d4275, v3
	v_ldexp_f32 v3, v8, v9
	v_cmp_ngt_f32_e32 vcc, s16, v14
	s_mov_b32 s16, 0x42b17218
	v_cndmask_b32_e32 v3, 0, v3, vcc
	v_mov_b32_e32 v8, 0x7f800000
	v_cmp_nlt_f32_e32 vcc, s16, v14
	v_sub_f32_e32 v6, v7, v6
	v_cndmask_b32_e32 v3, v8, v3, vcc
	v_mul_f32_e32 v6, 0.5, v6
	v_mul_f32_e32 v6, v3, v6
.LBB12_14:
	s_andn2_saveexec_b64 s[16:17], s[6:7]
	s_cbranch_execz .LBB12_16
; %bb.15:
	s_mov_b32 s19, 0x42000000
	v_div_scale_f32 v3, s[6:7], v14, v14, s19
	v_rcp_f32_e32 v6, v3
	v_div_scale_f32 v7, vcc, s19, v14, s19
	s_mov_b32 s6, 0x3fb8aa3b
	v_fma_f32 v8, -v3, v6, 1.0
	v_fmac_f32_e32 v6, v8, v6
	v_mul_f32_e32 v8, v7, v6
	v_fma_f32 v9, -v3, v8, v7
	v_fmac_f32_e32 v8, v9, v6
	v_fma_f32 v3, -v3, v8, v7
	v_div_fmas_f32 v3, v3, v6, v8
	v_div_fixup_f32 v3, v3, v14, s19
	v_add_f32_e32 v3, -2.0, v3
	v_mov_b32_e32 v6, 0xa2b236d3
	v_fmac_f32_e32 v6, 0xa3056dbb, v3
	v_mov_b32_e32 v7, 0x23056dbb
	v_fmac_f32_e32 v7, v3, v6
	v_add_f32_e32 v7, 0x244df0c1, v7
	v_fma_f32 v6, v3, v7, -v6
	v_add_f32_e32 v6, 0x241f9ee8, v6
	v_fma_f32 v7, v3, v6, -v7
	;; [unrolled: 2-line block ×18, first 2 shown]
	v_mul_f32_e32 v8, 0x3fb8aa3b, v14
	v_add_f32_e32 v7, 0x345c003f, v7
	v_rndne_f32_e32 v9, v8
	v_fma_f32 v6, v3, v7, -v6
	v_sub_f32_e32 v15, v8, v9
	v_fma_f32 v8, v14, s6, -v8
	v_add_f32_e32 v6, 0x3642095e, v6
	v_fmac_f32_e32 v8, 0x32a5705f, v14
	v_fma_f32 v7, v3, v6, -v7
	v_add_f32_e32 v8, v15, v8
	v_add_f32_e32 v7, 0x38907d1c, v7
	v_exp_f32_e32 v8, v8
	v_cvt_i32_f32_e32 v9, v9
	v_fma_f32 v6, v3, v7, -v6
	v_add_f32_e32 v6, 0x3b5ccc65, v6
	v_fma_f32 v3, v3, v6, -v7
	s_mov_b32 s6, 0xc2ce8ed0
	v_add_f32_e32 v6, 0x3f4df315, v3
	v_ldexp_f32 v3, v8, v9
	v_cmp_ngt_f32_e32 vcc, s6, v14
	s_mov_b32 s6, 0x42b17218
	v_cndmask_b32_e32 v3, 0, v3, vcc
	v_mov_b32_e32 v8, 0x7f800000
	v_cmp_nlt_f32_e32 vcc, s6, v14
	s_mov_b32 s6, 0xf800000
	v_cndmask_b32_e32 v3, v8, v3, vcc
	v_mul_f32_e32 v8, 0x4f800000, v14
	v_cmp_gt_f32_e32 vcc, s6, v14
	v_cndmask_b32_e32 v8, v14, v8, vcc
	v_sqrt_f32_e32 v9, v8
	v_sub_f32_e32 v6, v6, v7
	v_mul_f32_e32 v6, 0.5, v6
	v_mul_f32_e32 v6, v3, v6
	v_add_u32_e32 v7, -1, v9
	v_fma_f32 v15, -v7, v9, v8
	v_cmp_ge_f32_e64 s[6:7], 0, v15
	v_add_u32_e32 v15, 1, v9
	v_cndmask_b32_e64 v7, v9, v7, s[6:7]
	v_fma_f32 v9, -v15, v9, v8
	v_cmp_lt_f32_e64 s[6:7], 0, v9
	v_cndmask_b32_e64 v7, v7, v15, s[6:7]
	v_mul_f32_e32 v9, 0x37800000, v7
	v_cndmask_b32_e32 v7, v7, v9, vcc
	v_mov_b32_e32 v9, 0x260
	v_cmp_class_f32_e32 vcc, v8, v9
	v_cndmask_b32_e32 v7, v7, v8, vcc
	v_div_scale_f32 v8, s[6:7], v7, v7, v6
	v_rcp_f32_e32 v9, v8
	v_fma_f32 v15, -v8, v9, 1.0
	v_fmac_f32_e32 v9, v15, v9
	v_div_scale_f32 v15, vcc, v6, v7, v6
	v_mul_f32_e32 v16, v15, v9
	v_fma_f32 v17, -v8, v16, v15
	v_fmac_f32_e32 v16, v17, v9
	v_fma_f32 v8, -v8, v16, v15
	v_div_fmas_f32 v8, v8, v9, v16
	v_div_fixup_f32 v6, v8, v7, v6
.LBB12_16:
	s_or_b64 exec, exec, s[16:17]
	v_fma_f32 v7, v14, v14, -2.0
	v_mov_b32_e32 v8, 0x293fd856
	v_fmac_f32_e32 v8, 0x251e770f, v7
	v_mov_b32_e32 v9, 0xa51e770f
	v_fmac_f32_e32 v9, v7, v8
	v_add_f32_e32 v9, 0x2d3612e2, v9
	v_fma_f32 v8, v7, v9, -v8
	v_add_f32_e32 v8, 0x3102e09b, v8
	v_fma_f32 v9, v7, v8, -v9
	;; [unrolled: 2-line block ×6, first 2 shown]
	v_add_f32_e32 v9, 0x3eb046c4, v9
	s_mov_b32 s6, 0x800000
	v_fma_f32 v7, v7, v9, -v8
	v_mov_b32_e32 v9, 0x4f800000
	v_cmp_gt_f32_e32 vcc, s6, v2
	v_cndmask_b32_e32 v9, 1.0, v9, vcc
	v_mul_f32_e32 v2, v2, v9
	v_log_f32_e32 v2, v2
	v_add_f32_e32 v7, 0xbf090b37, v7
	v_sub_f32_e32 v7, v7, v8
	s_mov_b32 s6, 0x3f317217
	v_mul_f32_e32 v8, 0x3f317217, v2
	v_fma_f32 v9, v2, s6, -v8
	v_fmac_f32_e32 v9, 0x3377d1cf, v2
	s_mov_b32 s6, 0x7f800000
	v_add_f32_e32 v8, v8, v9
	v_cmp_lt_f32_e64 s[6:7], |v2|, s6
	v_cndmask_b32_e64 v2, v2, v8, s[6:7]
	v_mov_b32_e32 v8, 0x41b17218
	v_cndmask_b32_e32 v8, 0, v8, vcc
	v_sub_f32_e32 v2, v2, v8
	v_mul_f32_e32 v2, v2, v6
	v_fma_f32 v2, v7, 0.5, -v2
	v_mul_f32_e32 v6, v3, v2
                                        ; implicit-def: $vgpr14
.LBB12_17:
	s_andn2_saveexec_b64 s[14:15], s[14:15]
	s_cbranch_execz .LBB12_19
; %bb.18:
	s_mov_b32 s16, 0x41000000
	v_div_scale_f32 v2, s[6:7], v14, v14, s16
	v_rcp_f32_e32 v3, v2
	v_div_scale_f32 v6, vcc, s16, v14, s16
	s_mov_b32 s6, 0xf800000
	v_fma_f32 v7, -v2, v3, 1.0
	v_fmac_f32_e32 v3, v7, v3
	v_mul_f32_e32 v7, v6, v3
	v_fma_f32 v8, -v2, v7, v6
	v_fmac_f32_e32 v7, v8, v3
	v_fma_f32 v2, -v2, v7, v6
	v_div_fmas_f32 v2, v2, v3, v7
	v_div_fixup_f32 v2, v2, v14, s16
	v_add_f32_e32 v2, -2.0, v2
	v_mov_b32_e32 v3, 0xa397f665
	v_fmac_f32_e32 v3, 0x22c38d2e, v2
	v_mov_b32_e32 v6, 0xa2c38d2e
	v_fmac_f32_e32 v6, v2, v3
	v_add_f32_e32 v6, 0x24704972, v6
	v_fma_f32 v3, v2, v6, -v3
	v_add_f32_e32 v3, 0xa5417ca4, v3
	v_fma_f32 v6, v2, v3, -v6
	;; [unrolled: 2-line block ×22, first 2 shown]
	v_mul_f32_e32 v3, 0x4f800000, v14
	v_cmp_gt_f32_e32 vcc, s6, v14
	v_cndmask_b32_e32 v3, v14, v3, vcc
	v_sqrt_f32_e32 v7, v3
	v_add_f32_e32 v2, 0x401c2ded, v2
	v_sub_f32_e32 v2, v2, v6
	v_mul_f32_e32 v2, 0.5, v2
	v_add_u32_e32 v6, -1, v7
	v_fma_f32 v8, -v6, v7, v3
	v_cmp_ge_f32_e64 s[6:7], 0, v8
	v_add_u32_e32 v8, 1, v7
	v_cndmask_b32_e64 v6, v7, v6, s[6:7]
	v_fma_f32 v7, -v8, v7, v3
	v_cmp_lt_f32_e64 s[6:7], 0, v7
	v_cndmask_b32_e64 v6, v6, v8, s[6:7]
	v_mul_f32_e32 v7, 0x37800000, v6
	v_cndmask_b32_e32 v6, v6, v7, vcc
	v_mov_b32_e32 v7, 0x260
	v_cmp_class_f32_e32 vcc, v3, v7
	v_cndmask_b32_e32 v3, v6, v3, vcc
	v_div_scale_f32 v6, s[6:7], v3, v3, v2
	v_rcp_f32_e32 v7, v6
	v_fma_f32 v8, -v6, v7, 1.0
	v_fmac_f32_e32 v7, v8, v7
	v_div_scale_f32 v8, vcc, v2, v3, v2
	v_mul_f32_e32 v9, v8, v7
	v_fma_f32 v14, -v6, v9, v8
	v_fmac_f32_e32 v9, v14, v7
	v_fma_f32 v6, -v6, v9, v8
	v_div_fmas_f32 v6, v6, v7, v9
	v_div_fixup_f32 v6, v6, v3, v2
.LBB12_19:
	s_or_b64 exec, exec, s[14:15]
.LBB12_20:
	s_or_b64 exec, exec, s[12:13]
.LBB12_21:
	s_or_b64 exec, exec, s[10:11]
.LBB12_22:
	s_or_b64 exec, exec, s[8:9]
	v_add_u32_e32 v2, 0x100, v5
	v_cmp_lt_i32_e32 vcc, v2, v4
	s_and_saveexec_b64 s[8:9], vcc
	s_cbranch_execz .LBB12_36
; %bb.23:
	s_waitcnt vmcnt(0) lgkmcnt(0)
	v_cmp_neq_f32_e32 vcc, 0, v13
	v_mov_b32_e32 v7, 0x7f800000
	s_and_saveexec_b64 s[10:11], vcc
	s_cbranch_execz .LBB12_35
; %bb.24:
	v_cmp_ngt_f32_e32 vcc, 0, v13
	v_mov_b32_e32 v7, 0x7fc00000
	s_and_saveexec_b64 s[12:13], vcc
	s_cbranch_execz .LBB12_34
; %bb.25:
	v_cmp_ge_f32_e32 vcc, 2.0, v13
	s_and_saveexec_b64 s[6:7], vcc
	s_xor_b64 s[14:15], exec, s[6:7]
	s_cbranch_execz .LBB12_31
; %bb.26:
	s_mov_b32 s6, 0x41000000
	v_mul_f32_e32 v3, 0.5, v13
	v_cmp_ge_f32_e32 vcc, s6, v13
                                        ; implicit-def: $vgpr14
                                        ; implicit-def: $vgpr7
	s_and_saveexec_b64 s[6:7], vcc
	s_xor_b64 s[6:7], exec, s[6:7]
	s_cbranch_execz .LBB12_28
; %bb.27:
	v_add_f32_e32 v7, -2.0, v3
	v_mov_b32_e32 v14, 0x24199b15
	v_fmac_f32_e32 v14, 0xa2a2e5b9, v7
	v_mov_b32_e32 v15, 0x22a2e5b9
	v_fmac_f32_e32 v15, v7, v14
	v_add_f32_e32 v15, 0xa58c275c, v15
	v_fma_f32 v14, v7, v15, -v14
	v_add_f32_e32 v14, 0x26f736c5, v14
	v_fma_f32 v15, v7, v14, -v15
	;; [unrolled: 2-line block ×23, first 2 shown]
	v_mul_f32_e32 v16, 0x3fb8aa3b, v13
	v_add_f32_e32 v14, 0x3d49f456, v14
	s_mov_b32 s16, 0x3fb8aa3b
	v_rndne_f32_e32 v17, v16
	v_fma_f32 v15, v7, v14, -v15
	v_sub_f32_e32 v18, v16, v17
	v_fma_f32 v16, v13, s16, -v16
	v_add_f32_e32 v15, 0xbdc25b82, v15
	v_fmac_f32_e32 v16, 0x32a5705f, v13
	v_fma_f32 v14, v7, v15, -v14
	v_add_f32_e32 v16, v18, v16
	v_add_f32_e32 v14, 0x3e2fbd64, v14
	v_exp_f32_e32 v16, v16
	v_cvt_i32_f32_e32 v17, v17
	v_fma_f32 v15, v7, v14, -v15
	v_add_f32_e32 v15, 0xbe9bff5e, v15
	v_fma_f32 v7, v7, v15, -v14
	s_mov_b32 s16, 0xc2ce8ed0
	v_add_f32_e32 v15, 0x3f2d4275, v7
	v_ldexp_f32 v7, v16, v17
	v_cmp_ngt_f32_e32 vcc, s16, v13
	s_mov_b32 s16, 0x42b17218
	v_cndmask_b32_e32 v7, 0, v7, vcc
	v_mov_b32_e32 v16, 0x7f800000
	v_cmp_nlt_f32_e32 vcc, s16, v13
	v_sub_f32_e32 v14, v15, v14
	v_cndmask_b32_e32 v7, v16, v7, vcc
	v_mul_f32_e32 v14, 0.5, v14
	v_mul_f32_e32 v14, v7, v14
.LBB12_28:
	s_andn2_saveexec_b64 s[16:17], s[6:7]
	s_cbranch_execz .LBB12_30
; %bb.29:
	s_mov_b32 s19, 0x42000000
	v_div_scale_f32 v7, s[6:7], v13, v13, s19
	v_rcp_f32_e32 v14, v7
	v_div_scale_f32 v15, vcc, s19, v13, s19
	s_mov_b32 s6, 0x3fb8aa3b
	v_fma_f32 v16, -v7, v14, 1.0
	v_fmac_f32_e32 v14, v16, v14
	v_mul_f32_e32 v16, v15, v14
	v_fma_f32 v17, -v7, v16, v15
	v_fmac_f32_e32 v16, v17, v14
	v_fma_f32 v7, -v7, v16, v15
	v_div_fmas_f32 v7, v7, v14, v16
	v_div_fixup_f32 v7, v7, v13, s19
	v_add_f32_e32 v7, -2.0, v7
	v_mov_b32_e32 v14, 0xa2b236d3
	v_fmac_f32_e32 v14, 0xa3056dbb, v7
	v_mov_b32_e32 v15, 0x23056dbb
	v_fmac_f32_e32 v15, v7, v14
	v_add_f32_e32 v15, 0x244df0c1, v15
	v_fma_f32 v14, v7, v15, -v14
	v_add_f32_e32 v14, 0x241f9ee8, v14
	v_fma_f32 v15, v7, v14, -v15
	;; [unrolled: 2-line block ×18, first 2 shown]
	v_mul_f32_e32 v16, 0x3fb8aa3b, v13
	v_add_f32_e32 v15, 0x345c003f, v15
	v_rndne_f32_e32 v17, v16
	v_fma_f32 v14, v7, v15, -v14
	v_sub_f32_e32 v18, v16, v17
	v_fma_f32 v16, v13, s6, -v16
	v_add_f32_e32 v14, 0x3642095e, v14
	v_fmac_f32_e32 v16, 0x32a5705f, v13
	v_fma_f32 v15, v7, v14, -v15
	v_add_f32_e32 v16, v18, v16
	v_add_f32_e32 v15, 0x38907d1c, v15
	v_exp_f32_e32 v16, v16
	v_cvt_i32_f32_e32 v17, v17
	v_fma_f32 v14, v7, v15, -v14
	v_add_f32_e32 v14, 0x3b5ccc65, v14
	v_fma_f32 v7, v7, v14, -v15
	s_mov_b32 s6, 0xc2ce8ed0
	v_add_f32_e32 v14, 0x3f4df315, v7
	v_ldexp_f32 v7, v16, v17
	v_cmp_ngt_f32_e32 vcc, s6, v13
	s_mov_b32 s6, 0x42b17218
	v_cndmask_b32_e32 v7, 0, v7, vcc
	v_mov_b32_e32 v16, 0x7f800000
	v_cmp_nlt_f32_e32 vcc, s6, v13
	s_mov_b32 s6, 0xf800000
	v_cndmask_b32_e32 v7, v16, v7, vcc
	v_mul_f32_e32 v16, 0x4f800000, v13
	v_cmp_gt_f32_e32 vcc, s6, v13
	v_cndmask_b32_e32 v16, v13, v16, vcc
	v_sqrt_f32_e32 v17, v16
	v_sub_f32_e32 v14, v14, v15
	v_mul_f32_e32 v14, 0.5, v14
	v_mul_f32_e32 v14, v7, v14
	v_add_u32_e32 v15, -1, v17
	v_fma_f32 v18, -v15, v17, v16
	v_cmp_ge_f32_e64 s[6:7], 0, v18
	v_add_u32_e32 v18, 1, v17
	v_cndmask_b32_e64 v15, v17, v15, s[6:7]
	v_fma_f32 v17, -v18, v17, v16
	v_cmp_lt_f32_e64 s[6:7], 0, v17
	v_cndmask_b32_e64 v15, v15, v18, s[6:7]
	v_mul_f32_e32 v17, 0x37800000, v15
	v_cndmask_b32_e32 v15, v15, v17, vcc
	v_mov_b32_e32 v17, 0x260
	v_cmp_class_f32_e32 vcc, v16, v17
	v_cndmask_b32_e32 v15, v15, v16, vcc
	v_div_scale_f32 v16, s[6:7], v15, v15, v14
	v_rcp_f32_e32 v17, v16
	v_fma_f32 v18, -v16, v17, 1.0
	v_fmac_f32_e32 v17, v18, v17
	v_div_scale_f32 v18, vcc, v14, v15, v14
	v_mul_f32_e32 v19, v18, v17
	v_fma_f32 v20, -v16, v19, v18
	v_fmac_f32_e32 v19, v20, v17
	v_fma_f32 v16, -v16, v19, v18
	v_div_fmas_f32 v16, v16, v17, v19
	v_div_fixup_f32 v14, v16, v15, v14
.LBB12_30:
	s_or_b64 exec, exec, s[16:17]
	v_fma_f32 v13, v13, v13, -2.0
	v_mov_b32_e32 v15, 0x293fd856
	v_fmac_f32_e32 v15, 0x251e770f, v13
	v_mov_b32_e32 v16, 0xa51e770f
	v_fmac_f32_e32 v16, v13, v15
	v_add_f32_e32 v16, 0x2d3612e2, v16
	v_fma_f32 v15, v13, v16, -v15
	v_add_f32_e32 v15, 0x3102e09b, v15
	v_fma_f32 v16, v13, v15, -v16
	;; [unrolled: 2-line block ×6, first 2 shown]
	v_add_f32_e32 v16, 0x3eb046c4, v16
	s_mov_b32 s6, 0x800000
	v_fma_f32 v13, v13, v16, -v15
	v_mov_b32_e32 v16, 0x4f800000
	v_cmp_gt_f32_e32 vcc, s6, v3
	v_cndmask_b32_e32 v16, 1.0, v16, vcc
	v_mul_f32_e32 v3, v3, v16
	v_log_f32_e32 v3, v3
	v_add_f32_e32 v13, 0xbf090b37, v13
	v_sub_f32_e32 v13, v13, v15
	s_mov_b32 s6, 0x3f317217
	v_mul_f32_e32 v15, 0x3f317217, v3
	v_fma_f32 v16, v3, s6, -v15
	v_fmac_f32_e32 v16, 0x3377d1cf, v3
	s_mov_b32 s6, 0x7f800000
	v_add_f32_e32 v15, v15, v16
	v_cmp_lt_f32_e64 s[6:7], |v3|, s6
	v_cndmask_b32_e64 v3, v3, v15, s[6:7]
	v_mov_b32_e32 v15, 0x41b17218
	v_cndmask_b32_e32 v15, 0, v15, vcc
	v_sub_f32_e32 v3, v3, v15
	v_mul_f32_e32 v3, v3, v14
	v_fma_f32 v3, v13, 0.5, -v3
	v_mul_f32_e32 v7, v7, v3
                                        ; implicit-def: $vgpr13
.LBB12_31:
	s_andn2_saveexec_b64 s[14:15], s[14:15]
	s_cbranch_execz .LBB12_33
; %bb.32:
	s_mov_b32 s16, 0x41000000
	v_div_scale_f32 v3, s[6:7], v13, v13, s16
	v_rcp_f32_e32 v7, v3
	v_div_scale_f32 v14, vcc, s16, v13, s16
	s_mov_b32 s6, 0xf800000
	v_fma_f32 v15, -v3, v7, 1.0
	v_fmac_f32_e32 v7, v15, v7
	v_mul_f32_e32 v15, v14, v7
	v_fma_f32 v16, -v3, v15, v14
	v_fmac_f32_e32 v15, v16, v7
	v_fma_f32 v3, -v3, v15, v14
	v_div_fmas_f32 v3, v3, v7, v15
	v_div_fixup_f32 v3, v3, v13, s16
	v_add_f32_e32 v3, -2.0, v3
	v_mov_b32_e32 v7, 0xa397f665
	v_fmac_f32_e32 v7, 0x22c38d2e, v3
	v_mov_b32_e32 v14, 0xa2c38d2e
	v_fmac_f32_e32 v14, v3, v7
	v_add_f32_e32 v14, 0x24704972, v14
	v_fma_f32 v7, v3, v14, -v7
	v_add_f32_e32 v7, 0xa5417ca4, v7
	v_fma_f32 v14, v3, v7, -v14
	v_add_f32_e32 v14, 0x261edfcb, v14
	v_fma_f32 v7, v3, v14, -v7
	v_add_f32_e32 v7, 0xa7053487, v7
	v_fma_f32 v14, v3, v7, -v14
	v_add_f32_e32 v14, 0x27e46ce2, v14
	v_fma_f32 v7, v3, v14, -v7
	v_add_f32_e32 v7, 0xa8c8a2f6, v7
	v_fma_f32 v14, v3, v7, -v14
	v_add_f32_e32 v14, 0x29b4e276, v14
	v_fma_f32 v7, v3, v14, -v7
	v_add_f32_e32 v7, 0xaaa7c3b9, v7
	v_fma_f32 v14, v3, v7, -v14
	v_add_f32_e32 v14, 0x2ba07d19, v14
	v_fma_f32 v7, v3, v14, -v7
	v_add_f32_e32 v7, 0xac9ed7e2, v7
	v_fma_f32 v14, v3, v7, -v14
	v_add_f32_e32 v14, 0x2da34042, v14
	v_fma_f32 v7, v3, v14, -v7
	v_add_f32_e32 v7, 0xaeaefcaf, v7
	v_fma_f32 v14, v3, v7, -v14
	v_add_f32_e32 v14, 0x2fc4ab64, v14
	v_fma_f32 v7, v3, v14, -v7
	v_add_f32_e32 v7, 0xb0e94eb0, v7
	v_fma_f32 v14, v3, v7, -v14
	v_add_f32_e32 v14, 0x32134d00, v14
	v_fma_f32 v7, v3, v14, -v7
	v_add_f32_e32 v7, 0xb3482aa1, v7
	v_fma_f32 v14, v3, v7, -v14
	v_add_f32_e32 v14, 0x34948acc, v14
	v_fma_f32 v7, v3, v14, -v7
	v_add_f32_e32 v7, 0xb5f5daa4, v7
	v_fma_f32 v14, v3, v7, -v14
	v_add_f32_e32 v14, 0x376a09fe, v14
	v_fma_f32 v7, v3, v14, -v7
	v_add_f32_e32 v7, 0xb906bcbf, v7
	v_fma_f32 v14, v3, v7, -v14
	v_add_f32_e32 v14, 0x3acdc490, v14
	v_fma_f32 v7, v3, v14, -v7
	v_add_f32_e32 v7, 0xbd00cfb9, v7
	v_fma_f32 v3, v3, v7, -v14
	v_mul_f32_e32 v7, 0x4f800000, v13
	v_cmp_gt_f32_e32 vcc, s6, v13
	v_cndmask_b32_e32 v7, v13, v7, vcc
	v_sqrt_f32_e32 v13, v7
	v_add_f32_e32 v3, 0x401c2ded, v3
	v_sub_f32_e32 v3, v3, v14
	v_mul_f32_e32 v3, 0.5, v3
	v_add_u32_e32 v14, -1, v13
	v_fma_f32 v15, -v14, v13, v7
	v_cmp_ge_f32_e64 s[6:7], 0, v15
	v_add_u32_e32 v15, 1, v13
	v_cndmask_b32_e64 v14, v13, v14, s[6:7]
	v_fma_f32 v13, -v15, v13, v7
	v_cmp_lt_f32_e64 s[6:7], 0, v13
	v_cndmask_b32_e64 v13, v14, v15, s[6:7]
	v_mul_f32_e32 v14, 0x37800000, v13
	v_cndmask_b32_e32 v13, v13, v14, vcc
	v_mov_b32_e32 v14, 0x260
	v_cmp_class_f32_e32 vcc, v7, v14
	v_cndmask_b32_e32 v7, v13, v7, vcc
	v_div_scale_f32 v13, s[6:7], v7, v7, v3
	v_rcp_f32_e32 v14, v13
	v_fma_f32 v15, -v13, v14, 1.0
	v_fmac_f32_e32 v14, v15, v14
	v_div_scale_f32 v15, vcc, v3, v7, v3
	v_mul_f32_e32 v16, v15, v14
	v_fma_f32 v17, -v13, v16, v15
	v_fmac_f32_e32 v16, v17, v14
	v_fma_f32 v13, -v13, v16, v15
	v_div_fmas_f32 v13, v13, v14, v16
	v_div_fixup_f32 v7, v13, v7, v3
.LBB12_33:
	s_or_b64 exec, exec, s[14:15]
.LBB12_34:
	s_or_b64 exec, exec, s[12:13]
.LBB12_35:
	s_or_b64 exec, exec, s[10:11]
.LBB12_36:
	s_or_b64 exec, exec, s[8:9]
	v_add_u32_e32 v3, 0x200, v5
	v_cmp_lt_i32_e32 vcc, v3, v4
	s_and_saveexec_b64 s[8:9], vcc
	s_cbranch_execz .LBB12_50
; %bb.37:
	s_waitcnt vmcnt(0) lgkmcnt(0)
	v_cmp_neq_f32_e32 vcc, 0, v12
	v_mov_b32_e32 v8, 0x7f800000
	s_and_saveexec_b64 s[10:11], vcc
	s_cbranch_execz .LBB12_49
; %bb.38:
	v_cmp_ngt_f32_e32 vcc, 0, v12
	v_mov_b32_e32 v8, 0x7fc00000
	s_and_saveexec_b64 s[12:13], vcc
	s_cbranch_execz .LBB12_48
; %bb.39:
	v_cmp_ge_f32_e32 vcc, 2.0, v12
	s_and_saveexec_b64 s[6:7], vcc
	s_xor_b64 s[14:15], exec, s[6:7]
	s_cbranch_execz .LBB12_45
; %bb.40:
	s_mov_b32 s6, 0x41000000
	v_mul_f32_e32 v3, 0.5, v12
	v_cmp_ge_f32_e32 vcc, s6, v12
                                        ; implicit-def: $vgpr13
                                        ; implicit-def: $vgpr8
	s_and_saveexec_b64 s[6:7], vcc
	s_xor_b64 s[6:7], exec, s[6:7]
	s_cbranch_execz .LBB12_42
; %bb.41:
	v_add_f32_e32 v8, -2.0, v3
	v_mov_b32_e32 v13, 0x24199b15
	v_fmac_f32_e32 v13, 0xa2a2e5b9, v8
	v_mov_b32_e32 v14, 0x22a2e5b9
	v_fmac_f32_e32 v14, v8, v13
	v_add_f32_e32 v14, 0xa58c275c, v14
	v_fma_f32 v13, v8, v14, -v13
	v_add_f32_e32 v13, 0x26f736c5, v13
	v_fma_f32 v14, v8, v13, -v14
	;; [unrolled: 2-line block ×23, first 2 shown]
	v_mul_f32_e32 v15, 0x3fb8aa3b, v12
	v_add_f32_e32 v13, 0x3d49f456, v13
	s_mov_b32 s16, 0x3fb8aa3b
	v_rndne_f32_e32 v16, v15
	v_fma_f32 v14, v8, v13, -v14
	v_sub_f32_e32 v17, v15, v16
	v_fma_f32 v15, v12, s16, -v15
	v_add_f32_e32 v14, 0xbdc25b82, v14
	v_fmac_f32_e32 v15, 0x32a5705f, v12
	v_fma_f32 v13, v8, v14, -v13
	v_add_f32_e32 v15, v17, v15
	v_add_f32_e32 v13, 0x3e2fbd64, v13
	v_exp_f32_e32 v15, v15
	v_cvt_i32_f32_e32 v16, v16
	v_fma_f32 v14, v8, v13, -v14
	v_add_f32_e32 v14, 0xbe9bff5e, v14
	v_fma_f32 v8, v8, v14, -v13
	s_mov_b32 s16, 0xc2ce8ed0
	v_add_f32_e32 v14, 0x3f2d4275, v8
	v_ldexp_f32 v8, v15, v16
	v_cmp_ngt_f32_e32 vcc, s16, v12
	s_mov_b32 s16, 0x42b17218
	v_cndmask_b32_e32 v8, 0, v8, vcc
	v_mov_b32_e32 v15, 0x7f800000
	v_cmp_nlt_f32_e32 vcc, s16, v12
	v_sub_f32_e32 v13, v14, v13
	v_cndmask_b32_e32 v8, v15, v8, vcc
	v_mul_f32_e32 v13, 0.5, v13
	v_mul_f32_e32 v13, v8, v13
.LBB12_42:
	s_andn2_saveexec_b64 s[16:17], s[6:7]
	s_cbranch_execz .LBB12_44
; %bb.43:
	s_mov_b32 s19, 0x42000000
	v_div_scale_f32 v8, s[6:7], v12, v12, s19
	v_rcp_f32_e32 v13, v8
	v_div_scale_f32 v14, vcc, s19, v12, s19
	s_mov_b32 s6, 0x3fb8aa3b
	v_fma_f32 v15, -v8, v13, 1.0
	v_fmac_f32_e32 v13, v15, v13
	v_mul_f32_e32 v15, v14, v13
	v_fma_f32 v16, -v8, v15, v14
	v_fmac_f32_e32 v15, v16, v13
	v_fma_f32 v8, -v8, v15, v14
	v_div_fmas_f32 v8, v8, v13, v15
	v_div_fixup_f32 v8, v8, v12, s19
	v_add_f32_e32 v8, -2.0, v8
	v_mov_b32_e32 v13, 0xa2b236d3
	v_fmac_f32_e32 v13, 0xa3056dbb, v8
	v_mov_b32_e32 v14, 0x23056dbb
	v_fmac_f32_e32 v14, v8, v13
	v_add_f32_e32 v14, 0x244df0c1, v14
	v_fma_f32 v13, v8, v14, -v13
	v_add_f32_e32 v13, 0x241f9ee8, v13
	v_fma_f32 v14, v8, v13, -v14
	;; [unrolled: 2-line block ×18, first 2 shown]
	v_mul_f32_e32 v15, 0x3fb8aa3b, v12
	v_add_f32_e32 v14, 0x345c003f, v14
	v_rndne_f32_e32 v16, v15
	v_fma_f32 v13, v8, v14, -v13
	v_sub_f32_e32 v17, v15, v16
	v_fma_f32 v15, v12, s6, -v15
	v_add_f32_e32 v13, 0x3642095e, v13
	v_fmac_f32_e32 v15, 0x32a5705f, v12
	v_fma_f32 v14, v8, v13, -v14
	v_add_f32_e32 v15, v17, v15
	v_add_f32_e32 v14, 0x38907d1c, v14
	v_exp_f32_e32 v15, v15
	v_cvt_i32_f32_e32 v16, v16
	v_fma_f32 v13, v8, v14, -v13
	v_add_f32_e32 v13, 0x3b5ccc65, v13
	v_fma_f32 v8, v8, v13, -v14
	s_mov_b32 s6, 0xc2ce8ed0
	v_add_f32_e32 v13, 0x3f4df315, v8
	v_ldexp_f32 v8, v15, v16
	v_cmp_ngt_f32_e32 vcc, s6, v12
	s_mov_b32 s6, 0x42b17218
	v_cndmask_b32_e32 v8, 0, v8, vcc
	v_mov_b32_e32 v15, 0x7f800000
	v_cmp_nlt_f32_e32 vcc, s6, v12
	s_mov_b32 s6, 0xf800000
	v_cndmask_b32_e32 v8, v15, v8, vcc
	v_mul_f32_e32 v15, 0x4f800000, v12
	v_cmp_gt_f32_e32 vcc, s6, v12
	v_cndmask_b32_e32 v15, v12, v15, vcc
	v_sqrt_f32_e32 v16, v15
	v_sub_f32_e32 v13, v13, v14
	v_mul_f32_e32 v13, 0.5, v13
	v_mul_f32_e32 v13, v8, v13
	v_add_u32_e32 v14, -1, v16
	v_fma_f32 v17, -v14, v16, v15
	v_cmp_ge_f32_e64 s[6:7], 0, v17
	v_add_u32_e32 v17, 1, v16
	v_cndmask_b32_e64 v14, v16, v14, s[6:7]
	v_fma_f32 v16, -v17, v16, v15
	v_cmp_lt_f32_e64 s[6:7], 0, v16
	v_cndmask_b32_e64 v14, v14, v17, s[6:7]
	v_mul_f32_e32 v16, 0x37800000, v14
	v_cndmask_b32_e32 v14, v14, v16, vcc
	v_mov_b32_e32 v16, 0x260
	v_cmp_class_f32_e32 vcc, v15, v16
	v_cndmask_b32_e32 v14, v14, v15, vcc
	v_div_scale_f32 v15, s[6:7], v14, v14, v13
	v_rcp_f32_e32 v16, v15
	v_fma_f32 v17, -v15, v16, 1.0
	v_fmac_f32_e32 v16, v17, v16
	v_div_scale_f32 v17, vcc, v13, v14, v13
	v_mul_f32_e32 v18, v17, v16
	v_fma_f32 v19, -v15, v18, v17
	v_fmac_f32_e32 v18, v19, v16
	v_fma_f32 v15, -v15, v18, v17
	v_div_fmas_f32 v15, v15, v16, v18
	v_div_fixup_f32 v13, v15, v14, v13
.LBB12_44:
	s_or_b64 exec, exec, s[16:17]
	v_fma_f32 v12, v12, v12, -2.0
	v_mov_b32_e32 v14, 0x293fd856
	v_fmac_f32_e32 v14, 0x251e770f, v12
	v_mov_b32_e32 v15, 0xa51e770f
	v_fmac_f32_e32 v15, v12, v14
	v_add_f32_e32 v15, 0x2d3612e2, v15
	v_fma_f32 v14, v12, v15, -v14
	v_add_f32_e32 v14, 0x3102e09b, v14
	v_fma_f32 v15, v12, v14, -v15
	;; [unrolled: 2-line block ×6, first 2 shown]
	v_add_f32_e32 v15, 0x3eb046c4, v15
	s_mov_b32 s6, 0x800000
	v_fma_f32 v12, v12, v15, -v14
	v_mov_b32_e32 v15, 0x4f800000
	v_cmp_gt_f32_e32 vcc, s6, v3
	v_cndmask_b32_e32 v15, 1.0, v15, vcc
	v_mul_f32_e32 v3, v3, v15
	v_log_f32_e32 v3, v3
	v_add_f32_e32 v12, 0xbf090b37, v12
	v_sub_f32_e32 v12, v12, v14
	s_mov_b32 s6, 0x3f317217
	v_mul_f32_e32 v14, 0x3f317217, v3
	v_fma_f32 v15, v3, s6, -v14
	v_fmac_f32_e32 v15, 0x3377d1cf, v3
	s_mov_b32 s6, 0x7f800000
	v_add_f32_e32 v14, v14, v15
	v_cmp_lt_f32_e64 s[6:7], |v3|, s6
	v_cndmask_b32_e64 v3, v3, v14, s[6:7]
	v_mov_b32_e32 v14, 0x41b17218
	v_cndmask_b32_e32 v14, 0, v14, vcc
	v_sub_f32_e32 v3, v3, v14
	v_mul_f32_e32 v3, v3, v13
	v_fma_f32 v3, v12, 0.5, -v3
	v_mul_f32_e32 v8, v8, v3
                                        ; implicit-def: $vgpr12
.LBB12_45:
	s_andn2_saveexec_b64 s[14:15], s[14:15]
	s_cbranch_execz .LBB12_47
; %bb.46:
	s_mov_b32 s16, 0x41000000
	v_div_scale_f32 v3, s[6:7], v12, v12, s16
	v_rcp_f32_e32 v8, v3
	v_div_scale_f32 v13, vcc, s16, v12, s16
	s_mov_b32 s6, 0xf800000
	v_fma_f32 v14, -v3, v8, 1.0
	v_fmac_f32_e32 v8, v14, v8
	v_mul_f32_e32 v14, v13, v8
	v_fma_f32 v15, -v3, v14, v13
	v_fmac_f32_e32 v14, v15, v8
	v_fma_f32 v3, -v3, v14, v13
	v_div_fmas_f32 v3, v3, v8, v14
	v_div_fixup_f32 v3, v3, v12, s16
	v_add_f32_e32 v3, -2.0, v3
	v_mov_b32_e32 v8, 0xa397f665
	v_fmac_f32_e32 v8, 0x22c38d2e, v3
	v_mov_b32_e32 v13, 0xa2c38d2e
	v_fmac_f32_e32 v13, v3, v8
	v_add_f32_e32 v13, 0x24704972, v13
	v_fma_f32 v8, v3, v13, -v8
	v_add_f32_e32 v8, 0xa5417ca4, v8
	v_fma_f32 v13, v3, v8, -v13
	;; [unrolled: 2-line block ×22, first 2 shown]
	v_mul_f32_e32 v8, 0x4f800000, v12
	v_cmp_gt_f32_e32 vcc, s6, v12
	v_cndmask_b32_e32 v8, v12, v8, vcc
	v_sqrt_f32_e32 v12, v8
	v_add_f32_e32 v3, 0x401c2ded, v3
	v_sub_f32_e32 v3, v3, v13
	v_mul_f32_e32 v3, 0.5, v3
	v_add_u32_e32 v13, -1, v12
	v_fma_f32 v14, -v13, v12, v8
	v_cmp_ge_f32_e64 s[6:7], 0, v14
	v_add_u32_e32 v14, 1, v12
	v_cndmask_b32_e64 v13, v12, v13, s[6:7]
	v_fma_f32 v12, -v14, v12, v8
	v_cmp_lt_f32_e64 s[6:7], 0, v12
	v_cndmask_b32_e64 v12, v13, v14, s[6:7]
	v_mul_f32_e32 v13, 0x37800000, v12
	v_cndmask_b32_e32 v12, v12, v13, vcc
	v_mov_b32_e32 v13, 0x260
	v_cmp_class_f32_e32 vcc, v8, v13
	v_cndmask_b32_e32 v8, v12, v8, vcc
	v_div_scale_f32 v12, s[6:7], v8, v8, v3
	v_rcp_f32_e32 v13, v12
	v_fma_f32 v14, -v12, v13, 1.0
	v_fmac_f32_e32 v13, v14, v13
	v_div_scale_f32 v14, vcc, v3, v8, v3
	v_mul_f32_e32 v15, v14, v13
	v_fma_f32 v16, -v12, v15, v14
	v_fmac_f32_e32 v15, v16, v13
	v_fma_f32 v12, -v12, v15, v14
	v_div_fmas_f32 v12, v12, v13, v15
	v_div_fixup_f32 v8, v12, v8, v3
.LBB12_47:
	s_or_b64 exec, exec, s[14:15]
.LBB12_48:
	s_or_b64 exec, exec, s[12:13]
.LBB12_49:
	s_or_b64 exec, exec, s[10:11]
.LBB12_50:
	s_or_b64 exec, exec, s[8:9]
	v_add_u32_e32 v3, 0x300, v5
	v_cmp_lt_i32_e32 vcc, v3, v4
	s_and_saveexec_b64 s[8:9], vcc
	s_cbranch_execnz .LBB12_56
; %bb.51:
	s_or_b64 exec, exec, s[8:9]
	s_and_saveexec_b64 s[6:7], s[4:5]
	s_xor_b64 s[4:5], exec, s[6:7]
	s_cbranch_execnz .LBB12_69
.LBB12_52:
	s_or_b64 exec, exec, s[4:5]
	v_cmp_lt_i32_e32 vcc, v5, v4
	s_and_saveexec_b64 s[4:5], vcc
	s_cbranch_execnz .LBB12_70
.LBB12_53:
	s_or_b64 exec, exec, s[4:5]
	v_cmp_lt_i32_e32 vcc, v5, v4
	s_and_saveexec_b64 s[4:5], vcc
	s_cbranch_execnz .LBB12_71
.LBB12_54:
	s_or_b64 exec, exec, s[4:5]
	v_cmp_lt_i32_e32 vcc, v5, v4
	s_and_saveexec_b64 s[4:5], vcc
	s_cbranch_execnz .LBB12_72
.LBB12_55:
	s_or_b64 exec, exec, s[4:5]
	s_waitcnt vmcnt(0) lgkmcnt(0)
	s_setpc_b64 s[30:31]
.LBB12_56:
	s_waitcnt vmcnt(0) lgkmcnt(0)
	v_cmp_neq_f32_e32 vcc, 0, v11
	v_mov_b32_e32 v9, 0x7f800000
	s_and_saveexec_b64 s[10:11], vcc
	s_cbranch_execz .LBB12_68
; %bb.57:
	v_cmp_ngt_f32_e32 vcc, 0, v11
	v_mov_b32_e32 v9, 0x7fc00000
	s_and_saveexec_b64 s[12:13], vcc
	s_cbranch_execz .LBB12_67
; %bb.58:
	v_cmp_ge_f32_e32 vcc, 2.0, v11
	s_and_saveexec_b64 s[6:7], vcc
	s_xor_b64 s[14:15], exec, s[6:7]
	s_cbranch_execz .LBB12_64
; %bb.59:
	s_mov_b32 s6, 0x41000000
	v_mul_f32_e32 v3, 0.5, v11
	v_cmp_ge_f32_e32 vcc, s6, v11
                                        ; implicit-def: $vgpr12
                                        ; implicit-def: $vgpr9
	s_and_saveexec_b64 s[6:7], vcc
	s_xor_b64 s[6:7], exec, s[6:7]
	s_cbranch_execz .LBB12_61
; %bb.60:
	v_add_f32_e32 v9, -2.0, v3
	v_mov_b32_e32 v12, 0x24199b15
	v_fmac_f32_e32 v12, 0xa2a2e5b9, v9
	v_mov_b32_e32 v13, 0x22a2e5b9
	v_fmac_f32_e32 v13, v9, v12
	v_add_f32_e32 v13, 0xa58c275c, v13
	v_fma_f32 v12, v9, v13, -v12
	v_add_f32_e32 v12, 0x26f736c5, v12
	v_fma_f32 v13, v9, v12, -v13
	v_add_f32_e32 v13, 0xa8528116, v13
	v_fma_f32 v12, v9, v13, -v12
	v_add_f32_e32 v12, 0x29acda32, v12
	v_fma_f32 v13, v9, v12, -v13
	v_add_f32_e32 v13, 0xab08b263, v13
	v_fma_f32 v12, v9, v13, -v12
	v_add_f32_e32 v12, 0x2c4ff17f, v12
	v_fma_f32 v13, v9, v12, -v13
	v_add_f32_e32 v13, 0xad97e4ac, v13
	v_fma_f32 v12, v9, v13, -v12
	v_add_f32_e32 v12, 0x2ed4c5f6, v12
	v_fma_f32 v13, v9, v12, -v13
	v_add_f32_e32 v13, 0xb00ea7f1, v13
	v_fma_f32 v12, v9, v13, -v12
	v_add_f32_e32 v12, 0x3136c81d, v12
	v_fma_f32 v13, v9, v12, -v13
	v_add_f32_e32 v13, 0xb25f57b4, v13
	v_fma_f32 v12, v9, v13, -v12
	v_add_f32_e32 v12, 0x3381dbb5, v12
	v_fma_f32 v13, v9, v12, -v13
	v_add_f32_e32 v13, 0xb48f631c, v13
	v_fma_f32 v12, v9, v13, -v12
	v_add_f32_e32 v12, 0x3595f925, v12
	v_fma_f32 v13, v9, v12, -v13
	v_add_f32_e32 v13, 0xb694337e, v13
	v_fma_f32 v12, v9, v13, -v12
	v_add_f32_e32 v12, 0x3789fac6, v12
	v_fma_f32 v13, v9, v12, -v13
	v_add_f32_e32 v13, 0xb8715933, v13
	v_fma_f32 v12, v9, v13, -v12
	v_add_f32_e32 v12, 0x3945a8dc, v12
	v_fma_f32 v13, v9, v12, -v13
	v_add_f32_e32 v13, 0xba1717e9, v13
	v_fma_f32 v12, v9, v13, -v12
	v_add_f32_e32 v12, 0x3ad6e3ac, v12
	v_fma_f32 v13, v9, v12, -v13
	v_add_f32_e32 v13, 0xbb8db2f1, v13
	v_fma_f32 v12, v9, v13, -v12
	v_add_f32_e32 v12, 0x3c2ccb10, v12
	v_fma_f32 v13, v9, v12, -v13
	v_add_f32_e32 v13, 0xbcc274f8, v13
	v_fma_f32 v12, v9, v13, -v12
	v_mul_f32_e32 v14, 0x3fb8aa3b, v11
	v_add_f32_e32 v12, 0x3d49f456, v12
	s_mov_b32 s16, 0x3fb8aa3b
	v_rndne_f32_e32 v15, v14
	v_fma_f32 v13, v9, v12, -v13
	v_sub_f32_e32 v16, v14, v15
	v_fma_f32 v14, v11, s16, -v14
	v_add_f32_e32 v13, 0xbdc25b82, v13
	v_fmac_f32_e32 v14, 0x32a5705f, v11
	v_fma_f32 v12, v9, v13, -v12
	v_add_f32_e32 v14, v16, v14
	v_add_f32_e32 v12, 0x3e2fbd64, v12
	v_exp_f32_e32 v14, v14
	v_cvt_i32_f32_e32 v15, v15
	v_fma_f32 v13, v9, v12, -v13
	v_add_f32_e32 v13, 0xbe9bff5e, v13
	v_fma_f32 v9, v9, v13, -v12
	s_mov_b32 s16, 0xc2ce8ed0
	v_add_f32_e32 v13, 0x3f2d4275, v9
	v_ldexp_f32 v9, v14, v15
	v_cmp_ngt_f32_e32 vcc, s16, v11
	s_mov_b32 s16, 0x42b17218
	v_cndmask_b32_e32 v9, 0, v9, vcc
	v_mov_b32_e32 v14, 0x7f800000
	v_cmp_nlt_f32_e32 vcc, s16, v11
	v_sub_f32_e32 v12, v13, v12
	v_cndmask_b32_e32 v9, v14, v9, vcc
	v_mul_f32_e32 v12, 0.5, v12
	v_mul_f32_e32 v12, v9, v12
.LBB12_61:
	s_andn2_saveexec_b64 s[16:17], s[6:7]
	s_cbranch_execz .LBB12_63
; %bb.62:
	s_mov_b32 s19, 0x42000000
	v_div_scale_f32 v9, s[6:7], v11, v11, s19
	v_rcp_f32_e32 v12, v9
	v_div_scale_f32 v13, vcc, s19, v11, s19
	s_mov_b32 s6, 0x3fb8aa3b
	v_fma_f32 v14, -v9, v12, 1.0
	v_fmac_f32_e32 v12, v14, v12
	v_mul_f32_e32 v14, v13, v12
	v_fma_f32 v15, -v9, v14, v13
	v_fmac_f32_e32 v14, v15, v12
	v_fma_f32 v9, -v9, v14, v13
	v_div_fmas_f32 v9, v9, v12, v14
	v_div_fixup_f32 v9, v9, v11, s19
	v_add_f32_e32 v9, -2.0, v9
	v_mov_b32_e32 v12, 0xa2b236d3
	v_fmac_f32_e32 v12, 0xa3056dbb, v9
	v_mov_b32_e32 v13, 0x23056dbb
	v_fmac_f32_e32 v13, v9, v12
	v_add_f32_e32 v13, 0x244df0c1, v13
	v_fma_f32 v12, v9, v13, -v12
	v_add_f32_e32 v12, 0x241f9ee8, v12
	v_fma_f32 v13, v9, v12, -v13
	;; [unrolled: 2-line block ×18, first 2 shown]
	v_mul_f32_e32 v14, 0x3fb8aa3b, v11
	v_add_f32_e32 v13, 0x345c003f, v13
	v_rndne_f32_e32 v15, v14
	v_fma_f32 v12, v9, v13, -v12
	v_sub_f32_e32 v16, v14, v15
	v_fma_f32 v14, v11, s6, -v14
	v_add_f32_e32 v12, 0x3642095e, v12
	v_fmac_f32_e32 v14, 0x32a5705f, v11
	v_fma_f32 v13, v9, v12, -v13
	v_add_f32_e32 v14, v16, v14
	v_add_f32_e32 v13, 0x38907d1c, v13
	v_exp_f32_e32 v14, v14
	v_cvt_i32_f32_e32 v15, v15
	v_fma_f32 v12, v9, v13, -v12
	v_add_f32_e32 v12, 0x3b5ccc65, v12
	v_fma_f32 v9, v9, v12, -v13
	s_mov_b32 s6, 0xc2ce8ed0
	v_add_f32_e32 v12, 0x3f4df315, v9
	v_ldexp_f32 v9, v14, v15
	v_cmp_ngt_f32_e32 vcc, s6, v11
	s_mov_b32 s6, 0x42b17218
	v_cndmask_b32_e32 v9, 0, v9, vcc
	v_mov_b32_e32 v14, 0x7f800000
	v_cmp_nlt_f32_e32 vcc, s6, v11
	s_mov_b32 s6, 0xf800000
	v_cndmask_b32_e32 v9, v14, v9, vcc
	v_mul_f32_e32 v14, 0x4f800000, v11
	v_cmp_gt_f32_e32 vcc, s6, v11
	v_cndmask_b32_e32 v14, v11, v14, vcc
	v_sqrt_f32_e32 v15, v14
	v_sub_f32_e32 v12, v12, v13
	v_mul_f32_e32 v12, 0.5, v12
	v_mul_f32_e32 v12, v9, v12
	v_add_u32_e32 v13, -1, v15
	v_fma_f32 v16, -v13, v15, v14
	v_cmp_ge_f32_e64 s[6:7], 0, v16
	v_add_u32_e32 v16, 1, v15
	v_cndmask_b32_e64 v13, v15, v13, s[6:7]
	v_fma_f32 v15, -v16, v15, v14
	v_cmp_lt_f32_e64 s[6:7], 0, v15
	v_cndmask_b32_e64 v13, v13, v16, s[6:7]
	v_mul_f32_e32 v15, 0x37800000, v13
	v_cndmask_b32_e32 v13, v13, v15, vcc
	v_mov_b32_e32 v15, 0x260
	v_cmp_class_f32_e32 vcc, v14, v15
	v_cndmask_b32_e32 v13, v13, v14, vcc
	v_div_scale_f32 v14, s[6:7], v13, v13, v12
	v_rcp_f32_e32 v15, v14
	v_fma_f32 v16, -v14, v15, 1.0
	v_fmac_f32_e32 v15, v16, v15
	v_div_scale_f32 v16, vcc, v12, v13, v12
	v_mul_f32_e32 v17, v16, v15
	v_fma_f32 v18, -v14, v17, v16
	v_fmac_f32_e32 v17, v18, v15
	v_fma_f32 v14, -v14, v17, v16
	v_div_fmas_f32 v14, v14, v15, v17
	v_div_fixup_f32 v12, v14, v13, v12
.LBB12_63:
	s_or_b64 exec, exec, s[16:17]
	v_fma_f32 v11, v11, v11, -2.0
	v_mov_b32_e32 v13, 0x293fd856
	v_fmac_f32_e32 v13, 0x251e770f, v11
	v_mov_b32_e32 v14, 0xa51e770f
	v_fmac_f32_e32 v14, v11, v13
	v_add_f32_e32 v14, 0x2d3612e2, v14
	v_fma_f32 v13, v11, v14, -v13
	v_add_f32_e32 v13, 0x3102e09b, v13
	v_fma_f32 v14, v11, v13, -v14
	;; [unrolled: 2-line block ×6, first 2 shown]
	v_add_f32_e32 v14, 0x3eb046c4, v14
	s_mov_b32 s6, 0x800000
	v_fma_f32 v11, v11, v14, -v13
	v_mov_b32_e32 v14, 0x4f800000
	v_cmp_gt_f32_e32 vcc, s6, v3
	v_cndmask_b32_e32 v14, 1.0, v14, vcc
	v_mul_f32_e32 v3, v3, v14
	v_log_f32_e32 v3, v3
	v_add_f32_e32 v11, 0xbf090b37, v11
	v_sub_f32_e32 v11, v11, v13
	s_mov_b32 s6, 0x3f317217
	v_mul_f32_e32 v13, 0x3f317217, v3
	v_fma_f32 v14, v3, s6, -v13
	v_fmac_f32_e32 v14, 0x3377d1cf, v3
	s_mov_b32 s6, 0x7f800000
	v_add_f32_e32 v13, v13, v14
	v_cmp_lt_f32_e64 s[6:7], |v3|, s6
	v_cndmask_b32_e64 v3, v3, v13, s[6:7]
	v_mov_b32_e32 v13, 0x41b17218
	v_cndmask_b32_e32 v13, 0, v13, vcc
	v_sub_f32_e32 v3, v3, v13
	v_mul_f32_e32 v3, v3, v12
	v_fma_f32 v3, v11, 0.5, -v3
	v_mul_f32_e32 v9, v9, v3
                                        ; implicit-def: $vgpr11
.LBB12_64:
	s_andn2_saveexec_b64 s[14:15], s[14:15]
	s_cbranch_execz .LBB12_66
; %bb.65:
	s_mov_b32 s16, 0x41000000
	v_div_scale_f32 v3, s[6:7], v11, v11, s16
	v_rcp_f32_e32 v9, v3
	v_div_scale_f32 v12, vcc, s16, v11, s16
	s_mov_b32 s6, 0xf800000
	v_fma_f32 v13, -v3, v9, 1.0
	v_fmac_f32_e32 v9, v13, v9
	v_mul_f32_e32 v13, v12, v9
	v_fma_f32 v14, -v3, v13, v12
	v_fmac_f32_e32 v13, v14, v9
	v_fma_f32 v3, -v3, v13, v12
	v_div_fmas_f32 v3, v3, v9, v13
	v_div_fixup_f32 v3, v3, v11, s16
	v_add_f32_e32 v3, -2.0, v3
	v_mov_b32_e32 v9, 0xa397f665
	v_fmac_f32_e32 v9, 0x22c38d2e, v3
	v_mov_b32_e32 v12, 0xa2c38d2e
	v_fmac_f32_e32 v12, v3, v9
	v_add_f32_e32 v12, 0x24704972, v12
	v_fma_f32 v9, v3, v12, -v9
	v_add_f32_e32 v9, 0xa5417ca4, v9
	v_fma_f32 v12, v3, v9, -v12
	;; [unrolled: 2-line block ×22, first 2 shown]
	v_mul_f32_e32 v9, 0x4f800000, v11
	v_cmp_gt_f32_e32 vcc, s6, v11
	v_cndmask_b32_e32 v9, v11, v9, vcc
	v_sqrt_f32_e32 v11, v9
	v_add_f32_e32 v3, 0x401c2ded, v3
	v_sub_f32_e32 v3, v3, v12
	v_mul_f32_e32 v3, 0.5, v3
	v_add_u32_e32 v12, -1, v11
	v_fma_f32 v13, -v12, v11, v9
	v_cmp_ge_f32_e64 s[6:7], 0, v13
	v_add_u32_e32 v13, 1, v11
	v_cndmask_b32_e64 v12, v11, v12, s[6:7]
	v_fma_f32 v11, -v13, v11, v9
	v_cmp_lt_f32_e64 s[6:7], 0, v11
	v_cndmask_b32_e64 v11, v12, v13, s[6:7]
	v_mul_f32_e32 v12, 0x37800000, v11
	v_cndmask_b32_e32 v11, v11, v12, vcc
	v_mov_b32_e32 v12, 0x260
	v_cmp_class_f32_e32 vcc, v9, v12
	v_cndmask_b32_e32 v9, v11, v9, vcc
	v_div_scale_f32 v11, s[6:7], v9, v9, v3
	v_rcp_f32_e32 v12, v11
	v_fma_f32 v13, -v11, v12, 1.0
	v_fmac_f32_e32 v12, v13, v12
	v_div_scale_f32 v13, vcc, v3, v9, v3
	v_mul_f32_e32 v14, v13, v12
	v_fma_f32 v15, -v11, v14, v13
	v_fmac_f32_e32 v14, v15, v12
	v_fma_f32 v11, -v11, v14, v13
	v_div_fmas_f32 v11, v11, v12, v14
	v_div_fixup_f32 v9, v11, v9, v3
.LBB12_66:
	s_or_b64 exec, exec, s[14:15]
.LBB12_67:
	s_or_b64 exec, exec, s[12:13]
.LBB12_68:
	s_or_b64 exec, exec, s[10:11]
	s_or_b64 exec, exec, s[8:9]
	s_and_saveexec_b64 s[6:7], s[4:5]
	s_xor_b64 s[4:5], exec, s[6:7]
	s_cbranch_execz .LBB12_52
.LBB12_69:
	s_waitcnt vmcnt(0) lgkmcnt(0)
	v_mov_b32_e32 v11, 0
	v_lshlrev_b64 v[10:11], 2, v[10:11]
	v_add_co_u32_e32 v10, vcc, v0, v10
	v_addc_co_u32_e32 v11, vcc, v1, v11, vcc
	v_mov_b32_e32 v5, v2
	flat_store_dword v[10:11], v6
	s_or_b64 exec, exec, s[4:5]
	v_cmp_lt_i32_e32 vcc, v5, v4
	s_and_saveexec_b64 s[4:5], vcc
	s_cbranch_execz .LBB12_53
.LBB12_70:
	v_add_u32_e32 v2, s18, v5
	v_mov_b32_e32 v3, 0
	v_lshlrev_b64 v[2:3], 2, v[2:3]
	v_add_co_u32_e32 v2, vcc, v0, v2
	v_addc_co_u32_e32 v3, vcc, v1, v3, vcc
	v_add_u32_e32 v5, 0x100, v5
	flat_store_dword v[2:3], v7
	s_or_b64 exec, exec, s[4:5]
	v_cmp_lt_i32_e32 vcc, v5, v4
	s_and_saveexec_b64 s[4:5], vcc
	s_cbranch_execz .LBB12_54
.LBB12_71:
	v_add_u32_e32 v2, s18, v5
	v_mov_b32_e32 v3, 0
	v_lshlrev_b64 v[2:3], 2, v[2:3]
	v_add_co_u32_e32 v2, vcc, v0, v2
	v_addc_co_u32_e32 v3, vcc, v1, v3, vcc
	v_add_u32_e32 v5, 0x100, v5
	flat_store_dword v[2:3], v8
	s_or_b64 exec, exec, s[4:5]
	v_cmp_lt_i32_e32 vcc, v5, v4
	s_and_saveexec_b64 s[4:5], vcc
	s_cbranch_execz .LBB12_55
.LBB12_72:
	v_add_u32_e32 v2, s18, v5
	v_mov_b32_e32 v3, 0
	v_lshlrev_b64 v[2:3], 2, v[2:3]
	v_add_co_u32_e32 v0, vcc, v0, v2
	v_addc_co_u32_e32 v1, vcc, v1, v3, vcc
	flat_store_dword v[0:1], v9
	s_or_b64 exec, exec, s[4:5]
	s_waitcnt vmcnt(0) lgkmcnt(0)
	s_setpc_b64 s[30:31]
.Lfunc_end12:
	.size	_ZN2at6native25elementwise_kernel_helperILb0EZZZNS0_12_GLOBAL__N_137scaled_modified_bessel_k0_kernel_cudaERNS_18TensorIteratorBaseEENKUlvE_clEvENKUlvE0_clEvEUlfE_NS0_6memory8policies11unroll_baseILi256ESt5arrayIPcLm2EE23TrivialOffsetCalculatorILi1EjESF_NS8_15LoadWithoutCastENS8_16StoreWithoutCastELi4ELi1EEEEEvT0_T1_, .Lfunc_end12-_ZN2at6native25elementwise_kernel_helperILb0EZZZNS0_12_GLOBAL__N_137scaled_modified_bessel_k0_kernel_cudaERNS_18TensorIteratorBaseEENKUlvE_clEvENKUlvE0_clEvEUlfE_NS0_6memory8policies11unroll_baseILi256ESt5arrayIPcLm2EE23TrivialOffsetCalculatorILi1EjESF_NS8_15LoadWithoutCastENS8_16StoreWithoutCastELi4ELi1EEEEEvT0_T1_
                                        ; -- End function
	.section	.AMDGPU.csdata,"",@progbits
; Function info:
; codeLenInByte = 10348
; NumSgprs: 36
; NumVgprs: 32
; NumAgprs: 0
; TotalNumVgprs: 32
; ScratchSize: 0
; MemoryBound: 0
	.text
	.p2align	2                               ; -- Begin function _ZN2at6native25elementwise_kernel_helperILb0EZZZNS0_12_GLOBAL__N_137scaled_modified_bessel_k0_kernel_cudaERNS_18TensorIteratorBaseEENKUlvE_clEvENKUlvE0_clEvEUlfE_NS0_6memory8policies10vectorizedILi4ESt5arrayIPcLm2EELi4EEEEEvT0_T1_
	.type	_ZN2at6native25elementwise_kernel_helperILb0EZZZNS0_12_GLOBAL__N_137scaled_modified_bessel_k0_kernel_cudaERNS_18TensorIteratorBaseEENKUlvE_clEvENKUlvE0_clEvEUlfE_NS0_6memory8policies10vectorizedILi4ESt5arrayIPcLm2EELi4EEEEEvT0_T1_,@function
_ZN2at6native25elementwise_kernel_helperILb0EZZZNS0_12_GLOBAL__N_137scaled_modified_bessel_k0_kernel_cudaERNS_18TensorIteratorBaseEENKUlvE_clEvENKUlvE0_clEvEUlfE_NS0_6memory8policies10vectorizedILi4ESt5arrayIPcLm2EELi4EEEEEvT0_T1_: ; @_ZN2at6native25elementwise_kernel_helperILb0EZZZNS0_12_GLOBAL__N_137scaled_modified_bessel_k0_kernel_cudaERNS_18TensorIteratorBaseEENKUlvE_clEvENKUlvE0_clEvEUlfE_NS0_6memory8policies10vectorizedILi4ESt5arrayIPcLm2EELi4EEEEEvT0_T1_
; %bb.0:
	s_waitcnt vmcnt(0) expcnt(0) lgkmcnt(0)
	s_lshl_b32 s4, s12, 10
	s_ashr_i32 s5, s4, 31
	s_lshl_b64 s[6:7], s[4:5], 2
	v_mov_b32_e32 v4, s7
	v_add_co_u32_e32 v2, vcc, s6, v2
	v_addc_co_u32_e32 v3, vcc, v3, v4, vcc
	v_and_b32_e32 v4, 0x3ff, v31
	v_lshlrev_b32_e32 v10, 4, v4
	v_add_co_u32_e32 v2, vcc, v2, v10
	v_addc_co_u32_e32 v3, vcc, 0, v3, vcc
	flat_load_dwordx4 v[6:9], v[2:3]
	v_mov_b32_e32 v3, 0x7f800000
	v_mov_b32_e32 v2, 0x7f800000
	s_waitcnt vmcnt(0) lgkmcnt(0)
	v_cmp_neq_f32_e32 vcc, 0, v6
	s_and_saveexec_b64 s[8:9], vcc
	s_cbranch_execz .LBB13_12
; %bb.1:
	v_cmp_ngt_f32_e32 vcc, 0, v6
	v_mov_b32_e32 v2, 0x7fc00000
	s_and_saveexec_b64 s[10:11], vcc
	s_cbranch_execz .LBB13_11
; %bb.2:
	v_cmp_ge_f32_e32 vcc, 2.0, v6
	s_and_saveexec_b64 s[4:5], vcc
	s_xor_b64 s[12:13], exec, s[4:5]
	s_cbranch_execz .LBB13_8
; %bb.3:
	s_mov_b32 s4, 0x41000000
	v_mul_f32_e32 v2, 0.5, v6
	v_cmp_ge_f32_e32 vcc, s4, v6
                                        ; implicit-def: $vgpr5
                                        ; implicit-def: $vgpr4
	s_and_saveexec_b64 s[4:5], vcc
	s_xor_b64 s[4:5], exec, s[4:5]
	s_cbranch_execz .LBB13_5
; %bb.4:
	v_add_f32_e32 v4, -2.0, v2
	v_mov_b32_e32 v5, 0x24199b15
	v_fmac_f32_e32 v5, 0xa2a2e5b9, v4
	v_mov_b32_e32 v11, 0x22a2e5b9
	v_fmac_f32_e32 v11, v4, v5
	v_add_f32_e32 v11, 0xa58c275c, v11
	v_fma_f32 v5, v4, v11, -v5
	v_add_f32_e32 v5, 0x26f736c5, v5
	v_fma_f32 v11, v4, v5, -v11
	;; [unrolled: 2-line block ×23, first 2 shown]
	v_mul_f32_e32 v12, 0x3fb8aa3b, v6
	v_add_f32_e32 v5, 0x3d49f456, v5
	s_mov_b32 s14, 0x3fb8aa3b
	v_rndne_f32_e32 v13, v12
	v_fma_f32 v11, v4, v5, -v11
	v_sub_f32_e32 v14, v12, v13
	v_fma_f32 v12, v6, s14, -v12
	v_add_f32_e32 v11, 0xbdc25b82, v11
	v_fmac_f32_e32 v12, 0x32a5705f, v6
	v_fma_f32 v5, v4, v11, -v5
	v_add_f32_e32 v12, v14, v12
	v_add_f32_e32 v5, 0x3e2fbd64, v5
	v_exp_f32_e32 v12, v12
	v_cvt_i32_f32_e32 v13, v13
	v_fma_f32 v11, v4, v5, -v11
	v_add_f32_e32 v11, 0xbe9bff5e, v11
	v_fma_f32 v4, v4, v11, -v5
	s_mov_b32 s14, 0xc2ce8ed0
	v_add_f32_e32 v11, 0x3f2d4275, v4
	v_ldexp_f32 v4, v12, v13
	v_cmp_ngt_f32_e32 vcc, s14, v6
	s_mov_b32 s14, 0x42b17218
	v_cndmask_b32_e32 v4, 0, v4, vcc
	v_mov_b32_e32 v12, 0x7f800000
	v_cmp_nlt_f32_e32 vcc, s14, v6
	v_sub_f32_e32 v5, v11, v5
	v_cndmask_b32_e32 v4, v12, v4, vcc
	v_mul_f32_e32 v5, 0.5, v5
	v_mul_f32_e32 v5, v4, v5
.LBB13_5:
	s_andn2_saveexec_b64 s[14:15], s[4:5]
	s_cbranch_execz .LBB13_7
; %bb.6:
	s_mov_b32 s16, 0x42000000
	v_div_scale_f32 v4, s[4:5], v6, v6, s16
	v_rcp_f32_e32 v5, v4
	v_div_scale_f32 v11, vcc, s16, v6, s16
	s_mov_b32 s4, 0x3fb8aa3b
	v_fma_f32 v12, -v4, v5, 1.0
	v_fmac_f32_e32 v5, v12, v5
	v_mul_f32_e32 v12, v11, v5
	v_fma_f32 v13, -v4, v12, v11
	v_fmac_f32_e32 v12, v13, v5
	v_fma_f32 v4, -v4, v12, v11
	v_div_fmas_f32 v4, v4, v5, v12
	v_div_fixup_f32 v4, v4, v6, s16
	v_add_f32_e32 v4, -2.0, v4
	v_mov_b32_e32 v5, 0xa2b236d3
	v_fmac_f32_e32 v5, 0xa3056dbb, v4
	v_mov_b32_e32 v11, 0x23056dbb
	v_fmac_f32_e32 v11, v4, v5
	v_add_f32_e32 v11, 0x244df0c1, v11
	v_fma_f32 v5, v4, v11, -v5
	v_add_f32_e32 v5, 0x241f9ee8, v5
	v_fma_f32 v11, v4, v5, -v11
	;; [unrolled: 2-line block ×18, first 2 shown]
	v_mul_f32_e32 v12, 0x3fb8aa3b, v6
	v_add_f32_e32 v11, 0x345c003f, v11
	v_rndne_f32_e32 v13, v12
	v_fma_f32 v5, v4, v11, -v5
	v_sub_f32_e32 v14, v12, v13
	v_fma_f32 v12, v6, s4, -v12
	v_add_f32_e32 v5, 0x3642095e, v5
	v_fmac_f32_e32 v12, 0x32a5705f, v6
	v_fma_f32 v11, v4, v5, -v11
	v_add_f32_e32 v12, v14, v12
	v_add_f32_e32 v11, 0x38907d1c, v11
	v_exp_f32_e32 v12, v12
	v_cvt_i32_f32_e32 v13, v13
	v_fma_f32 v5, v4, v11, -v5
	v_add_f32_e32 v5, 0x3b5ccc65, v5
	v_fma_f32 v4, v4, v5, -v11
	s_mov_b32 s4, 0xc2ce8ed0
	v_add_f32_e32 v5, 0x3f4df315, v4
	v_ldexp_f32 v4, v12, v13
	v_cmp_ngt_f32_e32 vcc, s4, v6
	s_mov_b32 s4, 0x42b17218
	v_cndmask_b32_e32 v4, 0, v4, vcc
	v_mov_b32_e32 v12, 0x7f800000
	v_cmp_nlt_f32_e32 vcc, s4, v6
	s_mov_b32 s4, 0xf800000
	v_cndmask_b32_e32 v4, v12, v4, vcc
	v_mul_f32_e32 v12, 0x4f800000, v6
	v_cmp_gt_f32_e32 vcc, s4, v6
	v_cndmask_b32_e32 v12, v6, v12, vcc
	v_sqrt_f32_e32 v13, v12
	v_sub_f32_e32 v5, v5, v11
	v_mul_f32_e32 v5, 0.5, v5
	v_mul_f32_e32 v5, v4, v5
	v_add_u32_e32 v11, -1, v13
	v_fma_f32 v14, -v11, v13, v12
	v_cmp_ge_f32_e64 s[4:5], 0, v14
	v_add_u32_e32 v14, 1, v13
	v_cndmask_b32_e64 v11, v13, v11, s[4:5]
	v_fma_f32 v13, -v14, v13, v12
	v_cmp_lt_f32_e64 s[4:5], 0, v13
	v_cndmask_b32_e64 v11, v11, v14, s[4:5]
	v_mul_f32_e32 v13, 0x37800000, v11
	v_cndmask_b32_e32 v11, v11, v13, vcc
	v_mov_b32_e32 v13, 0x260
	v_cmp_class_f32_e32 vcc, v12, v13
	v_cndmask_b32_e32 v11, v11, v12, vcc
	v_div_scale_f32 v12, s[4:5], v11, v11, v5
	v_rcp_f32_e32 v13, v12
	v_fma_f32 v14, -v12, v13, 1.0
	v_fmac_f32_e32 v13, v14, v13
	v_div_scale_f32 v14, vcc, v5, v11, v5
	v_mul_f32_e32 v15, v14, v13
	v_fma_f32 v16, -v12, v15, v14
	v_fmac_f32_e32 v15, v16, v13
	v_fma_f32 v12, -v12, v15, v14
	v_div_fmas_f32 v12, v12, v13, v15
	v_div_fixup_f32 v5, v12, v11, v5
.LBB13_7:
	s_or_b64 exec, exec, s[14:15]
	v_fma_f32 v11, v6, v6, -2.0
	v_mov_b32_e32 v12, 0x293fd856
	v_fmac_f32_e32 v12, 0x251e770f, v11
	v_mov_b32_e32 v13, 0xa51e770f
	v_fmac_f32_e32 v13, v11, v12
	v_add_f32_e32 v13, 0x2d3612e2, v13
	v_fma_f32 v12, v11, v13, -v12
	v_add_f32_e32 v12, 0x3102e09b, v12
	v_fma_f32 v13, v11, v12, -v13
	;; [unrolled: 2-line block ×6, first 2 shown]
	v_add_f32_e32 v13, 0x3eb046c4, v13
	s_mov_b32 s4, 0x800000
	v_fma_f32 v11, v11, v13, -v12
	v_mov_b32_e32 v13, 0x4f800000
	v_cmp_gt_f32_e32 vcc, s4, v2
	v_cndmask_b32_e32 v13, 1.0, v13, vcc
	v_mul_f32_e32 v2, v2, v13
	v_log_f32_e32 v2, v2
	v_add_f32_e32 v11, 0xbf090b37, v11
	v_sub_f32_e32 v11, v11, v12
	s_mov_b32 s4, 0x3f317217
	v_mul_f32_e32 v12, 0x3f317217, v2
	v_fma_f32 v13, v2, s4, -v12
	v_fmac_f32_e32 v13, 0x3377d1cf, v2
	s_mov_b32 s4, 0x7f800000
	v_add_f32_e32 v12, v12, v13
	v_cmp_lt_f32_e64 s[4:5], |v2|, s4
	v_cndmask_b32_e64 v2, v2, v12, s[4:5]
	v_mov_b32_e32 v12, 0x41b17218
	v_cndmask_b32_e32 v12, 0, v12, vcc
	v_sub_f32_e32 v2, v2, v12
	v_mul_f32_e32 v2, v2, v5
	v_fma_f32 v2, v11, 0.5, -v2
	v_mul_f32_e32 v2, v4, v2
.LBB13_8:
	s_andn2_saveexec_b64 s[12:13], s[12:13]
	s_cbranch_execz .LBB13_10
; %bb.9:
	s_mov_b32 s14, 0x41000000
	v_div_scale_f32 v2, s[4:5], v6, v6, s14
	v_rcp_f32_e32 v4, v2
	v_div_scale_f32 v5, vcc, s14, v6, s14
	s_mov_b32 s4, 0xf800000
	v_fma_f32 v11, -v2, v4, 1.0
	v_fmac_f32_e32 v4, v11, v4
	v_mul_f32_e32 v11, v5, v4
	v_fma_f32 v12, -v2, v11, v5
	v_fmac_f32_e32 v11, v12, v4
	v_fma_f32 v2, -v2, v11, v5
	v_div_fmas_f32 v2, v2, v4, v11
	v_div_fixup_f32 v2, v2, v6, s14
	v_add_f32_e32 v2, -2.0, v2
	v_mov_b32_e32 v4, 0xa397f665
	v_fmac_f32_e32 v4, 0x22c38d2e, v2
	v_mov_b32_e32 v5, 0xa2c38d2e
	v_fmac_f32_e32 v5, v2, v4
	v_add_f32_e32 v5, 0x24704972, v5
	v_fma_f32 v4, v2, v5, -v4
	v_add_f32_e32 v4, 0xa5417ca4, v4
	v_fma_f32 v5, v2, v4, -v5
	;; [unrolled: 2-line block ×22, first 2 shown]
	v_mul_f32_e32 v4, 0x4f800000, v6
	v_cmp_gt_f32_e32 vcc, s4, v6
	v_cndmask_b32_e32 v4, v6, v4, vcc
	v_sqrt_f32_e32 v6, v4
	v_add_f32_e32 v2, 0x401c2ded, v2
	v_sub_f32_e32 v2, v2, v5
	v_mul_f32_e32 v2, 0.5, v2
	v_add_u32_e32 v5, -1, v6
	v_fma_f32 v11, -v5, v6, v4
	v_cmp_ge_f32_e64 s[4:5], 0, v11
	v_add_u32_e32 v11, 1, v6
	v_cndmask_b32_e64 v5, v6, v5, s[4:5]
	v_fma_f32 v6, -v11, v6, v4
	v_cmp_lt_f32_e64 s[4:5], 0, v6
	v_cndmask_b32_e64 v5, v5, v11, s[4:5]
	v_mul_f32_e32 v6, 0x37800000, v5
	v_cndmask_b32_e32 v5, v5, v6, vcc
	v_mov_b32_e32 v6, 0x260
	v_cmp_class_f32_e32 vcc, v4, v6
	v_cndmask_b32_e32 v4, v5, v4, vcc
	v_div_scale_f32 v5, s[4:5], v4, v4, v2
	v_rcp_f32_e32 v6, v5
	v_fma_f32 v11, -v5, v6, 1.0
	v_fmac_f32_e32 v6, v11, v6
	v_div_scale_f32 v11, vcc, v2, v4, v2
	v_mul_f32_e32 v12, v11, v6
	v_fma_f32 v13, -v5, v12, v11
	v_fmac_f32_e32 v12, v13, v6
	v_fma_f32 v5, -v5, v12, v11
	v_div_fmas_f32 v5, v5, v6, v12
	v_div_fixup_f32 v2, v5, v4, v2
.LBB13_10:
	s_or_b64 exec, exec, s[12:13]
.LBB13_11:
	s_or_b64 exec, exec, s[10:11]
.LBB13_12:
	s_or_b64 exec, exec, s[8:9]
	v_cmp_neq_f32_e32 vcc, 0, v7
	s_and_saveexec_b64 s[8:9], vcc
	s_cbranch_execz .LBB13_24
; %bb.13:
	v_cmp_ngt_f32_e32 vcc, 0, v7
	v_mov_b32_e32 v3, 0x7fc00000
	s_and_saveexec_b64 s[10:11], vcc
	s_cbranch_execz .LBB13_23
; %bb.14:
	v_cmp_ge_f32_e32 vcc, 2.0, v7
	s_and_saveexec_b64 s[4:5], vcc
	s_xor_b64 s[12:13], exec, s[4:5]
	s_cbranch_execz .LBB13_20
; %bb.15:
	s_mov_b32 s4, 0x41000000
	v_mul_f32_e32 v3, 0.5, v7
	v_cmp_ge_f32_e32 vcc, s4, v7
                                        ; implicit-def: $vgpr5
                                        ; implicit-def: $vgpr4
	s_and_saveexec_b64 s[4:5], vcc
	s_xor_b64 s[4:5], exec, s[4:5]
	s_cbranch_execz .LBB13_17
; %bb.16:
	v_add_f32_e32 v4, -2.0, v3
	v_mov_b32_e32 v5, 0x24199b15
	v_fmac_f32_e32 v5, 0xa2a2e5b9, v4
	v_mov_b32_e32 v6, 0x22a2e5b9
	v_fmac_f32_e32 v6, v4, v5
	v_add_f32_e32 v6, 0xa58c275c, v6
	v_fma_f32 v5, v4, v6, -v5
	v_add_f32_e32 v5, 0x26f736c5, v5
	v_fma_f32 v6, v4, v5, -v6
	;; [unrolled: 2-line block ×23, first 2 shown]
	v_mul_f32_e32 v11, 0x3fb8aa3b, v7
	v_add_f32_e32 v5, 0x3d49f456, v5
	s_mov_b32 s14, 0x3fb8aa3b
	v_rndne_f32_e32 v12, v11
	v_fma_f32 v6, v4, v5, -v6
	v_sub_f32_e32 v13, v11, v12
	v_fma_f32 v11, v7, s14, -v11
	v_add_f32_e32 v6, 0xbdc25b82, v6
	v_fmac_f32_e32 v11, 0x32a5705f, v7
	v_fma_f32 v5, v4, v6, -v5
	v_add_f32_e32 v11, v13, v11
	v_add_f32_e32 v5, 0x3e2fbd64, v5
	v_exp_f32_e32 v11, v11
	v_cvt_i32_f32_e32 v12, v12
	v_fma_f32 v6, v4, v5, -v6
	v_add_f32_e32 v6, 0xbe9bff5e, v6
	v_fma_f32 v4, v4, v6, -v5
	s_mov_b32 s14, 0xc2ce8ed0
	v_add_f32_e32 v6, 0x3f2d4275, v4
	v_ldexp_f32 v4, v11, v12
	v_cmp_ngt_f32_e32 vcc, s14, v7
	s_mov_b32 s14, 0x42b17218
	v_cndmask_b32_e32 v4, 0, v4, vcc
	v_mov_b32_e32 v11, 0x7f800000
	v_cmp_nlt_f32_e32 vcc, s14, v7
	v_sub_f32_e32 v5, v6, v5
	v_cndmask_b32_e32 v4, v11, v4, vcc
	v_mul_f32_e32 v5, 0.5, v5
	v_mul_f32_e32 v5, v4, v5
.LBB13_17:
	s_andn2_saveexec_b64 s[14:15], s[4:5]
	s_cbranch_execz .LBB13_19
; %bb.18:
	s_mov_b32 s16, 0x42000000
	v_div_scale_f32 v4, s[4:5], v7, v7, s16
	v_rcp_f32_e32 v5, v4
	v_div_scale_f32 v6, vcc, s16, v7, s16
	s_mov_b32 s4, 0x3fb8aa3b
	v_fma_f32 v11, -v4, v5, 1.0
	v_fmac_f32_e32 v5, v11, v5
	v_mul_f32_e32 v11, v6, v5
	v_fma_f32 v12, -v4, v11, v6
	v_fmac_f32_e32 v11, v12, v5
	v_fma_f32 v4, -v4, v11, v6
	v_div_fmas_f32 v4, v4, v5, v11
	v_div_fixup_f32 v4, v4, v7, s16
	v_add_f32_e32 v4, -2.0, v4
	v_mov_b32_e32 v5, 0xa2b236d3
	v_fmac_f32_e32 v5, 0xa3056dbb, v4
	v_mov_b32_e32 v6, 0x23056dbb
	v_fmac_f32_e32 v6, v4, v5
	v_add_f32_e32 v6, 0x244df0c1, v6
	v_fma_f32 v5, v4, v6, -v5
	v_add_f32_e32 v5, 0x241f9ee8, v5
	v_fma_f32 v6, v4, v5, -v6
	;; [unrolled: 2-line block ×18, first 2 shown]
	v_mul_f32_e32 v11, 0x3fb8aa3b, v7
	v_add_f32_e32 v6, 0x345c003f, v6
	v_rndne_f32_e32 v12, v11
	v_fma_f32 v5, v4, v6, -v5
	v_sub_f32_e32 v13, v11, v12
	v_fma_f32 v11, v7, s4, -v11
	v_add_f32_e32 v5, 0x3642095e, v5
	v_fmac_f32_e32 v11, 0x32a5705f, v7
	v_fma_f32 v6, v4, v5, -v6
	v_add_f32_e32 v11, v13, v11
	v_add_f32_e32 v6, 0x38907d1c, v6
	v_exp_f32_e32 v11, v11
	v_cvt_i32_f32_e32 v12, v12
	v_fma_f32 v5, v4, v6, -v5
	v_add_f32_e32 v5, 0x3b5ccc65, v5
	v_fma_f32 v4, v4, v5, -v6
	s_mov_b32 s4, 0xc2ce8ed0
	v_add_f32_e32 v5, 0x3f4df315, v4
	v_ldexp_f32 v4, v11, v12
	v_cmp_ngt_f32_e32 vcc, s4, v7
	s_mov_b32 s4, 0x42b17218
	v_cndmask_b32_e32 v4, 0, v4, vcc
	v_mov_b32_e32 v11, 0x7f800000
	v_cmp_nlt_f32_e32 vcc, s4, v7
	s_mov_b32 s4, 0xf800000
	v_cndmask_b32_e32 v4, v11, v4, vcc
	v_mul_f32_e32 v11, 0x4f800000, v7
	v_cmp_gt_f32_e32 vcc, s4, v7
	v_cndmask_b32_e32 v11, v7, v11, vcc
	v_sqrt_f32_e32 v12, v11
	v_sub_f32_e32 v5, v5, v6
	v_mul_f32_e32 v5, 0.5, v5
	v_mul_f32_e32 v5, v4, v5
	v_add_u32_e32 v6, -1, v12
	v_fma_f32 v13, -v6, v12, v11
	v_cmp_ge_f32_e64 s[4:5], 0, v13
	v_add_u32_e32 v13, 1, v12
	v_cndmask_b32_e64 v6, v12, v6, s[4:5]
	v_fma_f32 v12, -v13, v12, v11
	v_cmp_lt_f32_e64 s[4:5], 0, v12
	v_cndmask_b32_e64 v6, v6, v13, s[4:5]
	v_mul_f32_e32 v12, 0x37800000, v6
	v_cndmask_b32_e32 v6, v6, v12, vcc
	v_mov_b32_e32 v12, 0x260
	v_cmp_class_f32_e32 vcc, v11, v12
	v_cndmask_b32_e32 v6, v6, v11, vcc
	v_div_scale_f32 v11, s[4:5], v6, v6, v5
	v_rcp_f32_e32 v12, v11
	v_fma_f32 v13, -v11, v12, 1.0
	v_fmac_f32_e32 v12, v13, v12
	v_div_scale_f32 v13, vcc, v5, v6, v5
	v_mul_f32_e32 v14, v13, v12
	v_fma_f32 v15, -v11, v14, v13
	v_fmac_f32_e32 v14, v15, v12
	v_fma_f32 v11, -v11, v14, v13
	v_div_fmas_f32 v11, v11, v12, v14
	v_div_fixup_f32 v5, v11, v6, v5
.LBB13_19:
	s_or_b64 exec, exec, s[14:15]
	v_fma_f32 v6, v7, v7, -2.0
	v_mov_b32_e32 v11, 0x293fd856
	v_fmac_f32_e32 v11, 0x251e770f, v6
	v_mov_b32_e32 v12, 0xa51e770f
	v_fmac_f32_e32 v12, v6, v11
	v_add_f32_e32 v12, 0x2d3612e2, v12
	v_fma_f32 v11, v6, v12, -v11
	v_add_f32_e32 v11, 0x3102e09b, v11
	v_fma_f32 v12, v6, v11, -v12
	v_add_f32_e32 v12, 0x348815e7, v12
	v_fma_f32 v11, v6, v12, -v11
	v_add_f32_e32 v11, 0x37bfc808, v11
	v_fma_f32 v12, v6, v11, -v12
	v_add_f32_e32 v12, 0x3aa5c174, v12
	v_fma_f32 v11, v6, v12, -v11
	v_add_f32_e32 v11, 0x3d135fb3, v11
	v_fma_f32 v12, v6, v11, -v12
	v_add_f32_e32 v12, 0x3eb046c4, v12
	s_mov_b32 s4, 0x800000
	v_fma_f32 v6, v6, v12, -v11
	v_mov_b32_e32 v12, 0x4f800000
	v_cmp_gt_f32_e32 vcc, s4, v3
	v_cndmask_b32_e32 v12, 1.0, v12, vcc
	v_mul_f32_e32 v3, v3, v12
	v_log_f32_e32 v3, v3
	v_add_f32_e32 v6, 0xbf090b37, v6
	v_sub_f32_e32 v6, v6, v11
	s_mov_b32 s4, 0x3f317217
	v_mul_f32_e32 v11, 0x3f317217, v3
	v_fma_f32 v12, v3, s4, -v11
	v_fmac_f32_e32 v12, 0x3377d1cf, v3
	s_mov_b32 s4, 0x7f800000
	v_add_f32_e32 v11, v11, v12
	v_cmp_lt_f32_e64 s[4:5], |v3|, s4
	v_cndmask_b32_e64 v3, v3, v11, s[4:5]
	v_mov_b32_e32 v11, 0x41b17218
	v_cndmask_b32_e32 v11, 0, v11, vcc
	v_sub_f32_e32 v3, v3, v11
	v_mul_f32_e32 v3, v3, v5
	v_fma_f32 v3, v6, 0.5, -v3
	v_mul_f32_e32 v3, v4, v3
.LBB13_20:
	s_andn2_saveexec_b64 s[12:13], s[12:13]
	s_cbranch_execz .LBB13_22
; %bb.21:
	s_mov_b32 s14, 0x41000000
	v_div_scale_f32 v3, s[4:5], v7, v7, s14
	v_rcp_f32_e32 v4, v3
	v_div_scale_f32 v5, vcc, s14, v7, s14
	s_mov_b32 s4, 0xf800000
	v_fma_f32 v6, -v3, v4, 1.0
	v_fmac_f32_e32 v4, v6, v4
	v_mul_f32_e32 v6, v5, v4
	v_fma_f32 v11, -v3, v6, v5
	v_fmac_f32_e32 v6, v11, v4
	v_fma_f32 v3, -v3, v6, v5
	v_div_fmas_f32 v3, v3, v4, v6
	v_div_fixup_f32 v3, v3, v7, s14
	v_add_f32_e32 v3, -2.0, v3
	v_mov_b32_e32 v4, 0xa397f665
	v_fmac_f32_e32 v4, 0x22c38d2e, v3
	v_mov_b32_e32 v5, 0xa2c38d2e
	v_fmac_f32_e32 v5, v3, v4
	v_add_f32_e32 v5, 0x24704972, v5
	v_fma_f32 v4, v3, v5, -v4
	v_add_f32_e32 v4, 0xa5417ca4, v4
	v_fma_f32 v5, v3, v4, -v5
	;; [unrolled: 2-line block ×22, first 2 shown]
	v_mul_f32_e32 v4, 0x4f800000, v7
	v_cmp_gt_f32_e32 vcc, s4, v7
	v_cndmask_b32_e32 v4, v7, v4, vcc
	v_sqrt_f32_e32 v6, v4
	v_add_f32_e32 v3, 0x401c2ded, v3
	v_sub_f32_e32 v3, v3, v5
	v_mul_f32_e32 v3, 0.5, v3
	v_add_u32_e32 v5, -1, v6
	v_fma_f32 v7, -v5, v6, v4
	v_cmp_ge_f32_e64 s[4:5], 0, v7
	v_add_u32_e32 v7, 1, v6
	v_cndmask_b32_e64 v5, v6, v5, s[4:5]
	v_fma_f32 v6, -v7, v6, v4
	v_cmp_lt_f32_e64 s[4:5], 0, v6
	v_cndmask_b32_e64 v5, v5, v7, s[4:5]
	v_mul_f32_e32 v6, 0x37800000, v5
	v_cndmask_b32_e32 v5, v5, v6, vcc
	v_mov_b32_e32 v6, 0x260
	v_cmp_class_f32_e32 vcc, v4, v6
	v_cndmask_b32_e32 v4, v5, v4, vcc
	v_div_scale_f32 v5, s[4:5], v4, v4, v3
	v_rcp_f32_e32 v6, v5
	v_fma_f32 v7, -v5, v6, 1.0
	v_fmac_f32_e32 v6, v7, v6
	v_div_scale_f32 v7, vcc, v3, v4, v3
	v_mul_f32_e32 v11, v7, v6
	v_fma_f32 v12, -v5, v11, v7
	v_fmac_f32_e32 v11, v12, v6
	v_fma_f32 v5, -v5, v11, v7
	v_div_fmas_f32 v5, v5, v6, v11
	v_div_fixup_f32 v3, v5, v4, v3
.LBB13_22:
	s_or_b64 exec, exec, s[12:13]
.LBB13_23:
	s_or_b64 exec, exec, s[10:11]
.LBB13_24:
	s_or_b64 exec, exec, s[8:9]
	v_cmp_neq_f32_e32 vcc, 0, v8
	v_mov_b32_e32 v5, 0x7f800000
	v_mov_b32_e32 v4, 0x7f800000
	s_and_saveexec_b64 s[8:9], vcc
	s_cbranch_execz .LBB13_36
; %bb.25:
	v_cmp_ngt_f32_e32 vcc, 0, v8
	v_mov_b32_e32 v4, 0x7fc00000
	s_and_saveexec_b64 s[10:11], vcc
	s_cbranch_execz .LBB13_35
; %bb.26:
	v_cmp_ge_f32_e32 vcc, 2.0, v8
	s_and_saveexec_b64 s[4:5], vcc
	s_xor_b64 s[12:13], exec, s[4:5]
	s_cbranch_execz .LBB13_32
; %bb.27:
	s_mov_b32 s4, 0x41000000
	v_mul_f32_e32 v4, 0.5, v8
	v_cmp_ge_f32_e32 vcc, s4, v8
                                        ; implicit-def: $vgpr7
                                        ; implicit-def: $vgpr6
	s_and_saveexec_b64 s[4:5], vcc
	s_xor_b64 s[4:5], exec, s[4:5]
	s_cbranch_execz .LBB13_29
; %bb.28:
	v_add_f32_e32 v6, -2.0, v4
	v_mov_b32_e32 v7, 0x24199b15
	v_fmac_f32_e32 v7, 0xa2a2e5b9, v6
	v_mov_b32_e32 v11, 0x22a2e5b9
	v_fmac_f32_e32 v11, v6, v7
	v_add_f32_e32 v11, 0xa58c275c, v11
	v_fma_f32 v7, v6, v11, -v7
	v_add_f32_e32 v7, 0x26f736c5, v7
	v_fma_f32 v11, v6, v7, -v11
	;; [unrolled: 2-line block ×23, first 2 shown]
	v_mul_f32_e32 v12, 0x3fb8aa3b, v8
	v_add_f32_e32 v7, 0x3d49f456, v7
	s_mov_b32 s14, 0x3fb8aa3b
	v_rndne_f32_e32 v13, v12
	v_fma_f32 v11, v6, v7, -v11
	v_sub_f32_e32 v14, v12, v13
	v_fma_f32 v12, v8, s14, -v12
	v_add_f32_e32 v11, 0xbdc25b82, v11
	v_fmac_f32_e32 v12, 0x32a5705f, v8
	v_fma_f32 v7, v6, v11, -v7
	v_add_f32_e32 v12, v14, v12
	v_add_f32_e32 v7, 0x3e2fbd64, v7
	v_exp_f32_e32 v12, v12
	v_cvt_i32_f32_e32 v13, v13
	v_fma_f32 v11, v6, v7, -v11
	v_add_f32_e32 v11, 0xbe9bff5e, v11
	v_fma_f32 v6, v6, v11, -v7
	s_mov_b32 s14, 0xc2ce8ed0
	v_add_f32_e32 v11, 0x3f2d4275, v6
	v_ldexp_f32 v6, v12, v13
	v_cmp_ngt_f32_e32 vcc, s14, v8
	s_mov_b32 s14, 0x42b17218
	v_cndmask_b32_e32 v6, 0, v6, vcc
	v_mov_b32_e32 v12, 0x7f800000
	v_cmp_nlt_f32_e32 vcc, s14, v8
	v_sub_f32_e32 v7, v11, v7
	v_cndmask_b32_e32 v6, v12, v6, vcc
	v_mul_f32_e32 v7, 0.5, v7
	v_mul_f32_e32 v7, v6, v7
.LBB13_29:
	s_andn2_saveexec_b64 s[14:15], s[4:5]
	s_cbranch_execz .LBB13_31
; %bb.30:
	s_mov_b32 s16, 0x42000000
	v_div_scale_f32 v6, s[4:5], v8, v8, s16
	v_rcp_f32_e32 v7, v6
	v_div_scale_f32 v11, vcc, s16, v8, s16
	s_mov_b32 s4, 0x3fb8aa3b
	v_fma_f32 v12, -v6, v7, 1.0
	v_fmac_f32_e32 v7, v12, v7
	v_mul_f32_e32 v12, v11, v7
	v_fma_f32 v13, -v6, v12, v11
	v_fmac_f32_e32 v12, v13, v7
	v_fma_f32 v6, -v6, v12, v11
	v_div_fmas_f32 v6, v6, v7, v12
	v_div_fixup_f32 v6, v6, v8, s16
	v_add_f32_e32 v6, -2.0, v6
	v_mov_b32_e32 v7, 0xa2b236d3
	v_fmac_f32_e32 v7, 0xa3056dbb, v6
	v_mov_b32_e32 v11, 0x23056dbb
	v_fmac_f32_e32 v11, v6, v7
	v_add_f32_e32 v11, 0x244df0c1, v11
	v_fma_f32 v7, v6, v11, -v7
	v_add_f32_e32 v7, 0x241f9ee8, v7
	v_fma_f32 v11, v6, v7, -v11
	v_add_f32_e32 v11, 0xa5a3005d, v11
	v_fma_f32 v7, v6, v11, -v7
	v_add_f32_e32 v7, 0xa5c5773f, v7
	v_fma_f32 v11, v6, v7, -v11
	v_add_f32_e32 v11, 0x26ff73ed, v11
	v_fma_f32 v7, v6, v11, -v7
	v_add_f32_e32 v7, 0x2789548d, v7
	v_fma_f32 v11, v6, v7, -v11
	v_add_f32_e32 v11, 0xa82c1ff4, v11
	v_fma_f32 v7, v6, v11, -v7
	v_add_f32_e32 v7, 0xa93aecce, v7
	v_fma_f32 v11, v6, v7, -v11
	v_add_f32_e32 v11, 0x288ab7f8, v11
	v_fma_f32 v7, v6, v11, -v7
	v_add_f32_e32 v7, 0x2ad8e463, v7
	v_fma_f32 v11, v6, v7, -v11
	v_add_f32_e32 v11, 0x2b4a1a40, v11
	v_fma_f32 v7, v6, v11, -v7
	v_add_f32_e32 v7, 0xabfc8218, v7
	v_fma_f32 v11, v6, v7, -v11
	v_add_f32_e32 v11, 0xad687eba, v11
	v_fma_f32 v7, v6, v11, -v7
	v_add_f32_e32 v7, 0xae0a88e8, v7
	v_fma_f32 v11, v6, v7, -v11
	v_add_f32_e32 v11, 0x2d5127f5, v11
	v_fma_f32 v7, v6, v11, -v7
	v_add_f32_e32 v7, 0x3007ce66, v7
	v_fma_f32 v11, v6, v7, -v11
	v_add_f32_e32 v11, 0x31696325, v11
	v_fma_f32 v7, v6, v11, -v7
	v_add_f32_e32 v7, 0x32c2b494, v7
	v_fma_f32 v11, v6, v7, -v11
	v_mul_f32_e32 v12, 0x3fb8aa3b, v8
	v_add_f32_e32 v11, 0x345c003f, v11
	v_rndne_f32_e32 v13, v12
	v_fma_f32 v7, v6, v11, -v7
	v_sub_f32_e32 v14, v12, v13
	v_fma_f32 v12, v8, s4, -v12
	v_add_f32_e32 v7, 0x3642095e, v7
	v_fmac_f32_e32 v12, 0x32a5705f, v8
	v_fma_f32 v11, v6, v7, -v11
	v_add_f32_e32 v12, v14, v12
	v_add_f32_e32 v11, 0x38907d1c, v11
	v_exp_f32_e32 v12, v12
	v_cvt_i32_f32_e32 v13, v13
	v_fma_f32 v7, v6, v11, -v7
	v_add_f32_e32 v7, 0x3b5ccc65, v7
	v_fma_f32 v6, v6, v7, -v11
	s_mov_b32 s4, 0xc2ce8ed0
	v_add_f32_e32 v7, 0x3f4df315, v6
	v_ldexp_f32 v6, v12, v13
	v_cmp_ngt_f32_e32 vcc, s4, v8
	s_mov_b32 s4, 0x42b17218
	v_cndmask_b32_e32 v6, 0, v6, vcc
	v_mov_b32_e32 v12, 0x7f800000
	v_cmp_nlt_f32_e32 vcc, s4, v8
	s_mov_b32 s4, 0xf800000
	v_cndmask_b32_e32 v6, v12, v6, vcc
	v_mul_f32_e32 v12, 0x4f800000, v8
	v_cmp_gt_f32_e32 vcc, s4, v8
	v_cndmask_b32_e32 v12, v8, v12, vcc
	v_sqrt_f32_e32 v13, v12
	v_sub_f32_e32 v7, v7, v11
	v_mul_f32_e32 v7, 0.5, v7
	v_mul_f32_e32 v7, v6, v7
	v_add_u32_e32 v11, -1, v13
	v_fma_f32 v14, -v11, v13, v12
	v_cmp_ge_f32_e64 s[4:5], 0, v14
	v_add_u32_e32 v14, 1, v13
	v_cndmask_b32_e64 v11, v13, v11, s[4:5]
	v_fma_f32 v13, -v14, v13, v12
	v_cmp_lt_f32_e64 s[4:5], 0, v13
	v_cndmask_b32_e64 v11, v11, v14, s[4:5]
	v_mul_f32_e32 v13, 0x37800000, v11
	v_cndmask_b32_e32 v11, v11, v13, vcc
	v_mov_b32_e32 v13, 0x260
	v_cmp_class_f32_e32 vcc, v12, v13
	v_cndmask_b32_e32 v11, v11, v12, vcc
	v_div_scale_f32 v12, s[4:5], v11, v11, v7
	v_rcp_f32_e32 v13, v12
	v_fma_f32 v14, -v12, v13, 1.0
	v_fmac_f32_e32 v13, v14, v13
	v_div_scale_f32 v14, vcc, v7, v11, v7
	v_mul_f32_e32 v15, v14, v13
	v_fma_f32 v16, -v12, v15, v14
	v_fmac_f32_e32 v15, v16, v13
	v_fma_f32 v12, -v12, v15, v14
	v_div_fmas_f32 v12, v12, v13, v15
	v_div_fixup_f32 v7, v12, v11, v7
.LBB13_31:
	s_or_b64 exec, exec, s[14:15]
	v_fma_f32 v11, v8, v8, -2.0
	v_mov_b32_e32 v12, 0x293fd856
	v_fmac_f32_e32 v12, 0x251e770f, v11
	v_mov_b32_e32 v13, 0xa51e770f
	v_fmac_f32_e32 v13, v11, v12
	v_add_f32_e32 v13, 0x2d3612e2, v13
	v_fma_f32 v12, v11, v13, -v12
	v_add_f32_e32 v12, 0x3102e09b, v12
	v_fma_f32 v13, v11, v12, -v13
	;; [unrolled: 2-line block ×6, first 2 shown]
	v_add_f32_e32 v13, 0x3eb046c4, v13
	s_mov_b32 s4, 0x800000
	v_fma_f32 v11, v11, v13, -v12
	v_mov_b32_e32 v13, 0x4f800000
	v_cmp_gt_f32_e32 vcc, s4, v4
	v_cndmask_b32_e32 v13, 1.0, v13, vcc
	v_mul_f32_e32 v4, v4, v13
	v_log_f32_e32 v4, v4
	v_add_f32_e32 v11, 0xbf090b37, v11
	v_sub_f32_e32 v11, v11, v12
	s_mov_b32 s4, 0x3f317217
	v_mul_f32_e32 v12, 0x3f317217, v4
	v_fma_f32 v13, v4, s4, -v12
	v_fmac_f32_e32 v13, 0x3377d1cf, v4
	s_mov_b32 s4, 0x7f800000
	v_add_f32_e32 v12, v12, v13
	v_cmp_lt_f32_e64 s[4:5], |v4|, s4
	v_cndmask_b32_e64 v4, v4, v12, s[4:5]
	v_mov_b32_e32 v12, 0x41b17218
	v_cndmask_b32_e32 v12, 0, v12, vcc
	v_sub_f32_e32 v4, v4, v12
	v_mul_f32_e32 v4, v4, v7
	v_fma_f32 v4, v11, 0.5, -v4
	v_mul_f32_e32 v4, v6, v4
.LBB13_32:
	s_andn2_saveexec_b64 s[12:13], s[12:13]
	s_cbranch_execz .LBB13_34
; %bb.33:
	s_mov_b32 s14, 0x41000000
	v_div_scale_f32 v4, s[4:5], v8, v8, s14
	v_rcp_f32_e32 v6, v4
	v_div_scale_f32 v7, vcc, s14, v8, s14
	s_mov_b32 s4, 0xf800000
	v_fma_f32 v11, -v4, v6, 1.0
	v_fmac_f32_e32 v6, v11, v6
	v_mul_f32_e32 v11, v7, v6
	v_fma_f32 v12, -v4, v11, v7
	v_fmac_f32_e32 v11, v12, v6
	v_fma_f32 v4, -v4, v11, v7
	v_div_fmas_f32 v4, v4, v6, v11
	v_div_fixup_f32 v4, v4, v8, s14
	v_add_f32_e32 v4, -2.0, v4
	v_mov_b32_e32 v6, 0xa397f665
	v_fmac_f32_e32 v6, 0x22c38d2e, v4
	v_mov_b32_e32 v7, 0xa2c38d2e
	v_fmac_f32_e32 v7, v4, v6
	v_add_f32_e32 v7, 0x24704972, v7
	v_fma_f32 v6, v4, v7, -v6
	v_add_f32_e32 v6, 0xa5417ca4, v6
	v_fma_f32 v7, v4, v6, -v7
	;; [unrolled: 2-line block ×22, first 2 shown]
	v_mul_f32_e32 v6, 0x4f800000, v8
	v_cmp_gt_f32_e32 vcc, s4, v8
	v_cndmask_b32_e32 v6, v8, v6, vcc
	v_sqrt_f32_e32 v8, v6
	v_add_f32_e32 v4, 0x401c2ded, v4
	v_sub_f32_e32 v4, v4, v7
	v_mul_f32_e32 v4, 0.5, v4
	v_add_u32_e32 v7, -1, v8
	v_fma_f32 v11, -v7, v8, v6
	v_cmp_ge_f32_e64 s[4:5], 0, v11
	v_add_u32_e32 v11, 1, v8
	v_cndmask_b32_e64 v7, v8, v7, s[4:5]
	v_fma_f32 v8, -v11, v8, v6
	v_cmp_lt_f32_e64 s[4:5], 0, v8
	v_cndmask_b32_e64 v7, v7, v11, s[4:5]
	v_mul_f32_e32 v8, 0x37800000, v7
	v_cndmask_b32_e32 v7, v7, v8, vcc
	v_mov_b32_e32 v8, 0x260
	v_cmp_class_f32_e32 vcc, v6, v8
	v_cndmask_b32_e32 v6, v7, v6, vcc
	v_div_scale_f32 v7, s[4:5], v6, v6, v4
	v_rcp_f32_e32 v8, v7
	v_fma_f32 v11, -v7, v8, 1.0
	v_fmac_f32_e32 v8, v11, v8
	v_div_scale_f32 v11, vcc, v4, v6, v4
	v_mul_f32_e32 v12, v11, v8
	v_fma_f32 v13, -v7, v12, v11
	v_fmac_f32_e32 v12, v13, v8
	v_fma_f32 v7, -v7, v12, v11
	v_div_fmas_f32 v7, v7, v8, v12
	v_div_fixup_f32 v4, v7, v6, v4
.LBB13_34:
	s_or_b64 exec, exec, s[12:13]
.LBB13_35:
	s_or_b64 exec, exec, s[10:11]
.LBB13_36:
	s_or_b64 exec, exec, s[8:9]
	v_cmp_neq_f32_e32 vcc, 0, v9
	s_and_saveexec_b64 s[8:9], vcc
	s_cbranch_execz .LBB13_48
; %bb.37:
	v_cmp_ngt_f32_e32 vcc, 0, v9
	v_mov_b32_e32 v5, 0x7fc00000
	s_and_saveexec_b64 s[10:11], vcc
	s_cbranch_execz .LBB13_47
; %bb.38:
	v_cmp_ge_f32_e32 vcc, 2.0, v9
	s_and_saveexec_b64 s[4:5], vcc
	s_xor_b64 s[12:13], exec, s[4:5]
	s_cbranch_execz .LBB13_44
; %bb.39:
	s_mov_b32 s4, 0x41000000
	v_mul_f32_e32 v5, 0.5, v9
	v_cmp_ge_f32_e32 vcc, s4, v9
                                        ; implicit-def: $vgpr7
                                        ; implicit-def: $vgpr6
	s_and_saveexec_b64 s[4:5], vcc
	s_xor_b64 s[4:5], exec, s[4:5]
	s_cbranch_execz .LBB13_41
; %bb.40:
	v_add_f32_e32 v6, -2.0, v5
	v_mov_b32_e32 v7, 0x24199b15
	v_fmac_f32_e32 v7, 0xa2a2e5b9, v6
	v_mov_b32_e32 v8, 0x22a2e5b9
	v_fmac_f32_e32 v8, v6, v7
	v_add_f32_e32 v8, 0xa58c275c, v8
	v_fma_f32 v7, v6, v8, -v7
	v_add_f32_e32 v7, 0x26f736c5, v7
	v_fma_f32 v8, v6, v7, -v8
	;; [unrolled: 2-line block ×23, first 2 shown]
	v_mul_f32_e32 v11, 0x3fb8aa3b, v9
	v_add_f32_e32 v7, 0x3d49f456, v7
	s_mov_b32 s14, 0x3fb8aa3b
	v_rndne_f32_e32 v12, v11
	v_fma_f32 v8, v6, v7, -v8
	v_sub_f32_e32 v13, v11, v12
	v_fma_f32 v11, v9, s14, -v11
	v_add_f32_e32 v8, 0xbdc25b82, v8
	v_fmac_f32_e32 v11, 0x32a5705f, v9
	v_fma_f32 v7, v6, v8, -v7
	v_add_f32_e32 v11, v13, v11
	v_add_f32_e32 v7, 0x3e2fbd64, v7
	v_exp_f32_e32 v11, v11
	v_cvt_i32_f32_e32 v12, v12
	v_fma_f32 v8, v6, v7, -v8
	v_add_f32_e32 v8, 0xbe9bff5e, v8
	v_fma_f32 v6, v6, v8, -v7
	s_mov_b32 s14, 0xc2ce8ed0
	v_add_f32_e32 v8, 0x3f2d4275, v6
	v_ldexp_f32 v6, v11, v12
	v_cmp_ngt_f32_e32 vcc, s14, v9
	s_mov_b32 s14, 0x42b17218
	v_cndmask_b32_e32 v6, 0, v6, vcc
	v_mov_b32_e32 v11, 0x7f800000
	v_cmp_nlt_f32_e32 vcc, s14, v9
	v_sub_f32_e32 v7, v8, v7
	v_cndmask_b32_e32 v6, v11, v6, vcc
	v_mul_f32_e32 v7, 0.5, v7
	v_mul_f32_e32 v7, v6, v7
.LBB13_41:
	s_andn2_saveexec_b64 s[14:15], s[4:5]
	s_cbranch_execz .LBB13_43
; %bb.42:
	s_mov_b32 s16, 0x42000000
	v_div_scale_f32 v6, s[4:5], v9, v9, s16
	v_rcp_f32_e32 v7, v6
	v_div_scale_f32 v8, vcc, s16, v9, s16
	s_mov_b32 s4, 0x3fb8aa3b
	v_fma_f32 v11, -v6, v7, 1.0
	v_fmac_f32_e32 v7, v11, v7
	v_mul_f32_e32 v11, v8, v7
	v_fma_f32 v12, -v6, v11, v8
	v_fmac_f32_e32 v11, v12, v7
	v_fma_f32 v6, -v6, v11, v8
	v_div_fmas_f32 v6, v6, v7, v11
	v_div_fixup_f32 v6, v6, v9, s16
	v_add_f32_e32 v6, -2.0, v6
	v_mov_b32_e32 v7, 0xa2b236d3
	v_fmac_f32_e32 v7, 0xa3056dbb, v6
	v_mov_b32_e32 v8, 0x23056dbb
	v_fmac_f32_e32 v8, v6, v7
	v_add_f32_e32 v8, 0x244df0c1, v8
	v_fma_f32 v7, v6, v8, -v7
	v_add_f32_e32 v7, 0x241f9ee8, v7
	v_fma_f32 v8, v6, v7, -v8
	;; [unrolled: 2-line block ×18, first 2 shown]
	v_mul_f32_e32 v11, 0x3fb8aa3b, v9
	v_add_f32_e32 v8, 0x345c003f, v8
	v_rndne_f32_e32 v12, v11
	v_fma_f32 v7, v6, v8, -v7
	v_sub_f32_e32 v13, v11, v12
	v_fma_f32 v11, v9, s4, -v11
	v_add_f32_e32 v7, 0x3642095e, v7
	v_fmac_f32_e32 v11, 0x32a5705f, v9
	v_fma_f32 v8, v6, v7, -v8
	v_add_f32_e32 v11, v13, v11
	v_add_f32_e32 v8, 0x38907d1c, v8
	v_exp_f32_e32 v11, v11
	v_cvt_i32_f32_e32 v12, v12
	v_fma_f32 v7, v6, v8, -v7
	v_add_f32_e32 v7, 0x3b5ccc65, v7
	v_fma_f32 v6, v6, v7, -v8
	s_mov_b32 s4, 0xc2ce8ed0
	v_add_f32_e32 v7, 0x3f4df315, v6
	v_ldexp_f32 v6, v11, v12
	v_cmp_ngt_f32_e32 vcc, s4, v9
	s_mov_b32 s4, 0x42b17218
	v_cndmask_b32_e32 v6, 0, v6, vcc
	v_mov_b32_e32 v11, 0x7f800000
	v_cmp_nlt_f32_e32 vcc, s4, v9
	s_mov_b32 s4, 0xf800000
	v_cndmask_b32_e32 v6, v11, v6, vcc
	v_mul_f32_e32 v11, 0x4f800000, v9
	v_cmp_gt_f32_e32 vcc, s4, v9
	v_cndmask_b32_e32 v11, v9, v11, vcc
	v_sqrt_f32_e32 v12, v11
	v_sub_f32_e32 v7, v7, v8
	v_mul_f32_e32 v7, 0.5, v7
	v_mul_f32_e32 v7, v6, v7
	v_add_u32_e32 v8, -1, v12
	v_fma_f32 v13, -v8, v12, v11
	v_cmp_ge_f32_e64 s[4:5], 0, v13
	v_add_u32_e32 v13, 1, v12
	v_cndmask_b32_e64 v8, v12, v8, s[4:5]
	v_fma_f32 v12, -v13, v12, v11
	v_cmp_lt_f32_e64 s[4:5], 0, v12
	v_cndmask_b32_e64 v8, v8, v13, s[4:5]
	v_mul_f32_e32 v12, 0x37800000, v8
	v_cndmask_b32_e32 v8, v8, v12, vcc
	v_mov_b32_e32 v12, 0x260
	v_cmp_class_f32_e32 vcc, v11, v12
	v_cndmask_b32_e32 v8, v8, v11, vcc
	v_div_scale_f32 v11, s[4:5], v8, v8, v7
	v_rcp_f32_e32 v12, v11
	v_fma_f32 v13, -v11, v12, 1.0
	v_fmac_f32_e32 v12, v13, v12
	v_div_scale_f32 v13, vcc, v7, v8, v7
	v_mul_f32_e32 v14, v13, v12
	v_fma_f32 v15, -v11, v14, v13
	v_fmac_f32_e32 v14, v15, v12
	v_fma_f32 v11, -v11, v14, v13
	v_div_fmas_f32 v11, v11, v12, v14
	v_div_fixup_f32 v7, v11, v8, v7
.LBB13_43:
	s_or_b64 exec, exec, s[14:15]
	v_fma_f32 v8, v9, v9, -2.0
	v_mov_b32_e32 v9, 0x293fd856
	v_fmac_f32_e32 v9, 0x251e770f, v8
	v_mov_b32_e32 v11, 0xa51e770f
	v_fmac_f32_e32 v11, v8, v9
	v_add_f32_e32 v11, 0x2d3612e2, v11
	v_fma_f32 v9, v8, v11, -v9
	v_add_f32_e32 v9, 0x3102e09b, v9
	v_fma_f32 v11, v8, v9, -v11
	;; [unrolled: 2-line block ×6, first 2 shown]
	v_add_f32_e32 v11, 0x3eb046c4, v11
	s_mov_b32 s4, 0x800000
	v_fma_f32 v8, v8, v11, -v9
	v_mov_b32_e32 v11, 0x4f800000
	v_cmp_gt_f32_e32 vcc, s4, v5
	v_cndmask_b32_e32 v11, 1.0, v11, vcc
	v_mul_f32_e32 v5, v5, v11
	v_log_f32_e32 v5, v5
	v_add_f32_e32 v8, 0xbf090b37, v8
	v_sub_f32_e32 v8, v8, v9
	s_mov_b32 s4, 0x3f317217
	v_mul_f32_e32 v9, 0x3f317217, v5
	v_fma_f32 v11, v5, s4, -v9
	v_fmac_f32_e32 v11, 0x3377d1cf, v5
	s_mov_b32 s4, 0x7f800000
	v_add_f32_e32 v9, v9, v11
	v_cmp_lt_f32_e64 s[4:5], |v5|, s4
	v_cndmask_b32_e64 v5, v5, v9, s[4:5]
	v_mov_b32_e32 v9, 0x41b17218
	v_cndmask_b32_e32 v9, 0, v9, vcc
	v_sub_f32_e32 v5, v5, v9
	v_mul_f32_e32 v5, v5, v7
	v_fma_f32 v5, v8, 0.5, -v5
	v_mul_f32_e32 v5, v6, v5
                                        ; implicit-def: $vgpr6_vgpr7_vgpr8_vgpr9
.LBB13_44:
	s_andn2_saveexec_b64 s[12:13], s[12:13]
	s_cbranch_execz .LBB13_46
; %bb.45:
	s_mov_b32 s14, 0x41000000
	v_div_scale_f32 v5, s[4:5], v9, v9, s14
	v_rcp_f32_e32 v6, v5
	v_div_scale_f32 v7, vcc, s14, v9, s14
	s_mov_b32 s4, 0xf800000
	v_fma_f32 v8, -v5, v6, 1.0
	v_fmac_f32_e32 v6, v8, v6
	v_mul_f32_e32 v8, v7, v6
	v_fma_f32 v11, -v5, v8, v7
	v_fmac_f32_e32 v8, v11, v6
	v_fma_f32 v5, -v5, v8, v7
	v_div_fmas_f32 v5, v5, v6, v8
	v_div_fixup_f32 v5, v5, v9, s14
	v_add_f32_e32 v5, -2.0, v5
	v_mov_b32_e32 v6, 0xa397f665
	v_fmac_f32_e32 v6, 0x22c38d2e, v5
	v_mov_b32_e32 v7, 0xa2c38d2e
	v_fmac_f32_e32 v7, v5, v6
	v_add_f32_e32 v7, 0x24704972, v7
	v_fma_f32 v6, v5, v7, -v6
	v_add_f32_e32 v6, 0xa5417ca4, v6
	v_fma_f32 v7, v5, v6, -v7
	;; [unrolled: 2-line block ×22, first 2 shown]
	v_mul_f32_e32 v6, 0x4f800000, v9
	v_cmp_gt_f32_e32 vcc, s4, v9
	v_cndmask_b32_e32 v6, v9, v6, vcc
	v_sqrt_f32_e32 v8, v6
	v_add_f32_e32 v5, 0x401c2ded, v5
	v_sub_f32_e32 v5, v5, v7
	v_mul_f32_e32 v5, 0.5, v5
	v_add_u32_e32 v7, -1, v8
	v_fma_f32 v9, -v7, v8, v6
	v_cmp_ge_f32_e64 s[4:5], 0, v9
	v_add_u32_e32 v9, 1, v8
	v_cndmask_b32_e64 v7, v8, v7, s[4:5]
	v_fma_f32 v8, -v9, v8, v6
	v_cmp_lt_f32_e64 s[4:5], 0, v8
	v_cndmask_b32_e64 v7, v7, v9, s[4:5]
	v_mul_f32_e32 v8, 0x37800000, v7
	v_cndmask_b32_e32 v7, v7, v8, vcc
	v_mov_b32_e32 v8, 0x260
	v_cmp_class_f32_e32 vcc, v6, v8
	v_cndmask_b32_e32 v6, v7, v6, vcc
	v_div_scale_f32 v7, s[4:5], v6, v6, v5
	v_rcp_f32_e32 v8, v7
	v_fma_f32 v9, -v7, v8, 1.0
	v_fmac_f32_e32 v8, v9, v8
	v_div_scale_f32 v9, vcc, v5, v6, v5
	v_mul_f32_e32 v11, v9, v8
	v_fma_f32 v12, -v7, v11, v9
	v_fmac_f32_e32 v11, v12, v8
	v_fma_f32 v7, -v7, v11, v9
	v_div_fmas_f32 v7, v7, v8, v11
	v_div_fixup_f32 v5, v7, v6, v5
.LBB13_46:
	s_or_b64 exec, exec, s[12:13]
.LBB13_47:
	s_or_b64 exec, exec, s[10:11]
.LBB13_48:
	s_or_b64 exec, exec, s[8:9]
	v_mov_b32_e32 v6, s7
	v_add_co_u32_e32 v0, vcc, s6, v0
	v_addc_co_u32_e32 v1, vcc, v1, v6, vcc
	v_add_co_u32_e32 v0, vcc, v0, v10
	v_addc_co_u32_e32 v1, vcc, 0, v1, vcc
	flat_store_dwordx4 v[0:1], v[2:5]
	s_waitcnt vmcnt(0) lgkmcnt(0)
	s_setpc_b64 s[30:31]
.Lfunc_end13:
	.size	_ZN2at6native25elementwise_kernel_helperILb0EZZZNS0_12_GLOBAL__N_137scaled_modified_bessel_k0_kernel_cudaERNS_18TensorIteratorBaseEENKUlvE_clEvENKUlvE0_clEvEUlfE_NS0_6memory8policies10vectorizedILi4ESt5arrayIPcLm2EELi4EEEEEvT0_T1_, .Lfunc_end13-_ZN2at6native25elementwise_kernel_helperILb0EZZZNS0_12_GLOBAL__N_137scaled_modified_bessel_k0_kernel_cudaERNS_18TensorIteratorBaseEENKUlvE_clEvENKUlvE0_clEvEUlfE_NS0_6memory8policies10vectorizedILi4ESt5arrayIPcLm2EELi4EEEEEvT0_T1_
                                        ; -- End function
	.section	.AMDGPU.csdata,"",@progbits
; Function info:
; codeLenInByte = 9760
; NumSgprs: 36
; NumVgprs: 32
; NumAgprs: 0
; TotalNumVgprs: 32
; ScratchSize: 0
; MemoryBound: 0
	.section	.text._ZN2at6native29vectorized_elementwise_kernelILi16EZZZNS0_12_GLOBAL__N_137scaled_modified_bessel_k0_kernel_cudaERNS_18TensorIteratorBaseEENKUlvE_clEvENKUlvE0_clEvEUlfE_St5arrayIPcLm2EEEEviT0_T1_,"axG",@progbits,_ZN2at6native29vectorized_elementwise_kernelILi16EZZZNS0_12_GLOBAL__N_137scaled_modified_bessel_k0_kernel_cudaERNS_18TensorIteratorBaseEENKUlvE_clEvENKUlvE0_clEvEUlfE_St5arrayIPcLm2EEEEviT0_T1_,comdat
	.globl	_ZN2at6native29vectorized_elementwise_kernelILi16EZZZNS0_12_GLOBAL__N_137scaled_modified_bessel_k0_kernel_cudaERNS_18TensorIteratorBaseEENKUlvE_clEvENKUlvE0_clEvEUlfE_St5arrayIPcLm2EEEEviT0_T1_ ; -- Begin function _ZN2at6native29vectorized_elementwise_kernelILi16EZZZNS0_12_GLOBAL__N_137scaled_modified_bessel_k0_kernel_cudaERNS_18TensorIteratorBaseEENKUlvE_clEvENKUlvE0_clEvEUlfE_St5arrayIPcLm2EEEEviT0_T1_
	.p2align	8
	.type	_ZN2at6native29vectorized_elementwise_kernelILi16EZZZNS0_12_GLOBAL__N_137scaled_modified_bessel_k0_kernel_cudaERNS_18TensorIteratorBaseEENKUlvE_clEvENKUlvE0_clEvEUlfE_St5arrayIPcLm2EEEEviT0_T1_,@function
_ZN2at6native29vectorized_elementwise_kernelILi16EZZZNS0_12_GLOBAL__N_137scaled_modified_bessel_k0_kernel_cudaERNS_18TensorIteratorBaseEENKUlvE_clEvENKUlvE0_clEvEUlfE_St5arrayIPcLm2EEEEviT0_T1_: ; @_ZN2at6native29vectorized_elementwise_kernelILi16EZZZNS0_12_GLOBAL__N_137scaled_modified_bessel_k0_kernel_cudaERNS_18TensorIteratorBaseEENKUlvE_clEvENKUlvE0_clEvEUlfE_St5arrayIPcLm2EEEEviT0_T1_
; %bb.0:
	s_add_u32 flat_scratch_lo, s6, s9
	s_load_dword s6, s[4:5], 0x0
	s_load_dwordx4 s[20:23], s[4:5], 0x8
	s_addc_u32 flat_scratch_hi, s7, 0
	s_add_u32 s0, s0, s9
	s_addc_u32 s1, s1, 0
	s_lshl_b32 s4, s8, 10
	s_waitcnt lgkmcnt(0)
	s_sub_i32 s18, s6, s4
	s_mov_b32 s17, s8
	v_mov_b32_e32 v31, v0
	s_cmpk_gt_i32 s18, 0x3ff
	s_mov_b64 s[4:5], -1
	s_mov_b32 s32, 0
	s_cbranch_scc1 .LBB14_3
; %bb.1:
	s_andn2_b64 vcc, exec, s[4:5]
	s_cbranch_vccz .LBB14_4
.LBB14_2:
	s_endpgm
.LBB14_3:
	s_mov_b32 s12, s17
	v_mov_b32_e32 v0, s20
	v_mov_b32_e32 v1, s21
	;; [unrolled: 1-line block ×4, first 2 shown]
	s_getpc_b64 s[4:5]
	s_add_u32 s4, s4, _ZN2at6native25elementwise_kernel_helperILb0EZZZNS0_12_GLOBAL__N_137scaled_modified_bessel_k0_kernel_cudaERNS_18TensorIteratorBaseEENKUlvE_clEvENKUlvE0_clEvEUlfE_NS0_6memory8policies10vectorizedILi4ESt5arrayIPcLm2EELi4EEEEEvT0_T1_@rel32@lo+4
	s_addc_u32 s5, s5, _ZN2at6native25elementwise_kernel_helperILb0EZZZNS0_12_GLOBAL__N_137scaled_modified_bessel_k0_kernel_cudaERNS_18TensorIteratorBaseEENKUlvE_clEvENKUlvE0_clEvEUlfE_NS0_6memory8policies10vectorizedILi4ESt5arrayIPcLm2EELi4EEEEEvT0_T1_@rel32@hi+12
	s_swappc_b64 s[30:31], s[4:5]
	s_cbranch_execnz .LBB14_2
.LBB14_4:
	s_mov_b32 s12, s17
	v_mov_b32_e32 v0, s20
	v_mov_b32_e32 v1, s21
	;; [unrolled: 1-line block ×5, first 2 shown]
	s_getpc_b64 s[4:5]
	s_add_u32 s4, s4, _ZN2at6native25elementwise_kernel_helperILb0EZZZNS0_12_GLOBAL__N_137scaled_modified_bessel_k0_kernel_cudaERNS_18TensorIteratorBaseEENKUlvE_clEvENKUlvE0_clEvEUlfE_NS0_6memory8policies11unroll_baseILi256ESt5arrayIPcLm2EE23TrivialOffsetCalculatorILi1EjESF_NS8_15LoadWithoutCastENS8_16StoreWithoutCastELi4ELi1EEEEEvT0_T1_@rel32@lo+4
	s_addc_u32 s5, s5, _ZN2at6native25elementwise_kernel_helperILb0EZZZNS0_12_GLOBAL__N_137scaled_modified_bessel_k0_kernel_cudaERNS_18TensorIteratorBaseEENKUlvE_clEvENKUlvE0_clEvEUlfE_NS0_6memory8policies11unroll_baseILi256ESt5arrayIPcLm2EE23TrivialOffsetCalculatorILi1EjESF_NS8_15LoadWithoutCastENS8_16StoreWithoutCastELi4ELi1EEEEEvT0_T1_@rel32@hi+12
	s_swappc_b64 s[30:31], s[4:5]
	s_endpgm
	.section	.rodata,"a",@progbits
	.p2align	6, 0x0
	.amdhsa_kernel _ZN2at6native29vectorized_elementwise_kernelILi16EZZZNS0_12_GLOBAL__N_137scaled_modified_bessel_k0_kernel_cudaERNS_18TensorIteratorBaseEENKUlvE_clEvENKUlvE0_clEvEUlfE_St5arrayIPcLm2EEEEviT0_T1_
		.amdhsa_group_segment_fixed_size 0
		.amdhsa_private_segment_fixed_size 0
		.amdhsa_kernarg_size 24
		.amdhsa_user_sgpr_count 8
		.amdhsa_user_sgpr_private_segment_buffer 1
		.amdhsa_user_sgpr_dispatch_ptr 0
		.amdhsa_user_sgpr_queue_ptr 0
		.amdhsa_user_sgpr_kernarg_segment_ptr 1
		.amdhsa_user_sgpr_dispatch_id 0
		.amdhsa_user_sgpr_flat_scratch_init 1
		.amdhsa_user_sgpr_kernarg_preload_length 0
		.amdhsa_user_sgpr_kernarg_preload_offset 0
		.amdhsa_user_sgpr_private_segment_size 0
		.amdhsa_uses_dynamic_stack 0
		.amdhsa_system_sgpr_private_segment_wavefront_offset 0
		.amdhsa_system_sgpr_workgroup_id_x 1
		.amdhsa_system_sgpr_workgroup_id_y 0
		.amdhsa_system_sgpr_workgroup_id_z 0
		.amdhsa_system_sgpr_workgroup_info 0
		.amdhsa_system_vgpr_workitem_id 0
		.amdhsa_next_free_vgpr 32
		.amdhsa_next_free_sgpr 33
		.amdhsa_accum_offset 32
		.amdhsa_reserve_vcc 1
		.amdhsa_reserve_flat_scratch 1
		.amdhsa_float_round_mode_32 0
		.amdhsa_float_round_mode_16_64 0
		.amdhsa_float_denorm_mode_32 3
		.amdhsa_float_denorm_mode_16_64 3
		.amdhsa_dx10_clamp 1
		.amdhsa_ieee_mode 1
		.amdhsa_fp16_overflow 0
		.amdhsa_tg_split 0
		.amdhsa_exception_fp_ieee_invalid_op 0
		.amdhsa_exception_fp_denorm_src 0
		.amdhsa_exception_fp_ieee_div_zero 0
		.amdhsa_exception_fp_ieee_overflow 0
		.amdhsa_exception_fp_ieee_underflow 0
		.amdhsa_exception_fp_ieee_inexact 0
		.amdhsa_exception_int_div_zero 0
	.end_amdhsa_kernel
	.section	.text._ZN2at6native29vectorized_elementwise_kernelILi16EZZZNS0_12_GLOBAL__N_137scaled_modified_bessel_k0_kernel_cudaERNS_18TensorIteratorBaseEENKUlvE_clEvENKUlvE0_clEvEUlfE_St5arrayIPcLm2EEEEviT0_T1_,"axG",@progbits,_ZN2at6native29vectorized_elementwise_kernelILi16EZZZNS0_12_GLOBAL__N_137scaled_modified_bessel_k0_kernel_cudaERNS_18TensorIteratorBaseEENKUlvE_clEvENKUlvE0_clEvEUlfE_St5arrayIPcLm2EEEEviT0_T1_,comdat
.Lfunc_end14:
	.size	_ZN2at6native29vectorized_elementwise_kernelILi16EZZZNS0_12_GLOBAL__N_137scaled_modified_bessel_k0_kernel_cudaERNS_18TensorIteratorBaseEENKUlvE_clEvENKUlvE0_clEvEUlfE_St5arrayIPcLm2EEEEviT0_T1_, .Lfunc_end14-_ZN2at6native29vectorized_elementwise_kernelILi16EZZZNS0_12_GLOBAL__N_137scaled_modified_bessel_k0_kernel_cudaERNS_18TensorIteratorBaseEENKUlvE_clEvENKUlvE0_clEvEUlfE_St5arrayIPcLm2EEEEviT0_T1_
                                        ; -- End function
	.section	.AMDGPU.csdata,"",@progbits
; Kernel info:
; codeLenInByte = 180
; NumSgprs: 39
; NumVgprs: 32
; NumAgprs: 0
; TotalNumVgprs: 32
; ScratchSize: 0
; MemoryBound: 0
; FloatMode: 240
; IeeeMode: 1
; LDSByteSize: 0 bytes/workgroup (compile time only)
; SGPRBlocks: 4
; VGPRBlocks: 3
; NumSGPRsForWavesPerEU: 39
; NumVGPRsForWavesPerEU: 32
; AccumOffset: 32
; Occupancy: 8
; WaveLimiterHint : 0
; COMPUTE_PGM_RSRC2:SCRATCH_EN: 0
; COMPUTE_PGM_RSRC2:USER_SGPR: 8
; COMPUTE_PGM_RSRC2:TRAP_HANDLER: 0
; COMPUTE_PGM_RSRC2:TGID_X_EN: 1
; COMPUTE_PGM_RSRC2:TGID_Y_EN: 0
; COMPUTE_PGM_RSRC2:TGID_Z_EN: 0
; COMPUTE_PGM_RSRC2:TIDIG_COMP_CNT: 0
; COMPUTE_PGM_RSRC3_GFX90A:ACCUM_OFFSET: 7
; COMPUTE_PGM_RSRC3_GFX90A:TG_SPLIT: 0
	.section	.text._ZN2at6native29vectorized_elementwise_kernelILi8EZZZNS0_12_GLOBAL__N_137scaled_modified_bessel_k0_kernel_cudaERNS_18TensorIteratorBaseEENKUlvE_clEvENKUlvE0_clEvEUlfE_St5arrayIPcLm2EEEEviT0_T1_,"axG",@progbits,_ZN2at6native29vectorized_elementwise_kernelILi8EZZZNS0_12_GLOBAL__N_137scaled_modified_bessel_k0_kernel_cudaERNS_18TensorIteratorBaseEENKUlvE_clEvENKUlvE0_clEvEUlfE_St5arrayIPcLm2EEEEviT0_T1_,comdat
	.globl	_ZN2at6native29vectorized_elementwise_kernelILi8EZZZNS0_12_GLOBAL__N_137scaled_modified_bessel_k0_kernel_cudaERNS_18TensorIteratorBaseEENKUlvE_clEvENKUlvE0_clEvEUlfE_St5arrayIPcLm2EEEEviT0_T1_ ; -- Begin function _ZN2at6native29vectorized_elementwise_kernelILi8EZZZNS0_12_GLOBAL__N_137scaled_modified_bessel_k0_kernel_cudaERNS_18TensorIteratorBaseEENKUlvE_clEvENKUlvE0_clEvEUlfE_St5arrayIPcLm2EEEEviT0_T1_
	.p2align	8
	.type	_ZN2at6native29vectorized_elementwise_kernelILi8EZZZNS0_12_GLOBAL__N_137scaled_modified_bessel_k0_kernel_cudaERNS_18TensorIteratorBaseEENKUlvE_clEvENKUlvE0_clEvEUlfE_St5arrayIPcLm2EEEEviT0_T1_,@function
_ZN2at6native29vectorized_elementwise_kernelILi8EZZZNS0_12_GLOBAL__N_137scaled_modified_bessel_k0_kernel_cudaERNS_18TensorIteratorBaseEENKUlvE_clEvENKUlvE0_clEvEUlfE_St5arrayIPcLm2EEEEviT0_T1_: ; @_ZN2at6native29vectorized_elementwise_kernelILi8EZZZNS0_12_GLOBAL__N_137scaled_modified_bessel_k0_kernel_cudaERNS_18TensorIteratorBaseEENKUlvE_clEvENKUlvE0_clEvEUlfE_St5arrayIPcLm2EEEEviT0_T1_
; %bb.0:
	s_add_u32 flat_scratch_lo, s6, s9
	s_load_dword s6, s[4:5], 0x0
	s_load_dwordx4 s[20:23], s[4:5], 0x8
	s_addc_u32 flat_scratch_hi, s7, 0
	s_add_u32 s0, s0, s9
	s_addc_u32 s1, s1, 0
	s_lshl_b32 s4, s8, 10
	s_waitcnt lgkmcnt(0)
	s_sub_i32 s18, s6, s4
	s_mov_b32 s17, s8
	v_mov_b32_e32 v31, v0
	s_cmpk_gt_i32 s18, 0x3ff
	s_mov_b64 s[4:5], -1
	s_mov_b32 s32, 0
	s_cbranch_scc1 .LBB15_3
; %bb.1:
	s_andn2_b64 vcc, exec, s[4:5]
	s_cbranch_vccz .LBB15_4
.LBB15_2:
	s_endpgm
.LBB15_3:
	s_mov_b32 s12, s17
	v_mov_b32_e32 v0, s20
	v_mov_b32_e32 v1, s21
	;; [unrolled: 1-line block ×4, first 2 shown]
	s_getpc_b64 s[4:5]
	s_add_u32 s4, s4, _ZN2at6native25elementwise_kernel_helperILb0EZZZNS0_12_GLOBAL__N_137scaled_modified_bessel_k0_kernel_cudaERNS_18TensorIteratorBaseEENKUlvE_clEvENKUlvE0_clEvEUlfE_NS0_6memory8policies10vectorizedILi4ESt5arrayIPcLm2EELi4EEEEEvT0_T1_@rel32@lo+4
	s_addc_u32 s5, s5, _ZN2at6native25elementwise_kernel_helperILb0EZZZNS0_12_GLOBAL__N_137scaled_modified_bessel_k0_kernel_cudaERNS_18TensorIteratorBaseEENKUlvE_clEvENKUlvE0_clEvEUlfE_NS0_6memory8policies10vectorizedILi4ESt5arrayIPcLm2EELi4EEEEEvT0_T1_@rel32@hi+12
	s_swappc_b64 s[30:31], s[4:5]
	s_cbranch_execnz .LBB15_2
.LBB15_4:
	s_mov_b32 s12, s17
	v_mov_b32_e32 v0, s20
	v_mov_b32_e32 v1, s21
	;; [unrolled: 1-line block ×5, first 2 shown]
	s_getpc_b64 s[4:5]
	s_add_u32 s4, s4, _ZN2at6native25elementwise_kernel_helperILb0EZZZNS0_12_GLOBAL__N_137scaled_modified_bessel_k0_kernel_cudaERNS_18TensorIteratorBaseEENKUlvE_clEvENKUlvE0_clEvEUlfE_NS0_6memory8policies11unroll_baseILi256ESt5arrayIPcLm2EE23TrivialOffsetCalculatorILi1EjESF_NS8_15LoadWithoutCastENS8_16StoreWithoutCastELi4ELi1EEEEEvT0_T1_@rel32@lo+4
	s_addc_u32 s5, s5, _ZN2at6native25elementwise_kernel_helperILb0EZZZNS0_12_GLOBAL__N_137scaled_modified_bessel_k0_kernel_cudaERNS_18TensorIteratorBaseEENKUlvE_clEvENKUlvE0_clEvEUlfE_NS0_6memory8policies11unroll_baseILi256ESt5arrayIPcLm2EE23TrivialOffsetCalculatorILi1EjESF_NS8_15LoadWithoutCastENS8_16StoreWithoutCastELi4ELi1EEEEEvT0_T1_@rel32@hi+12
	s_swappc_b64 s[30:31], s[4:5]
	s_endpgm
	.section	.rodata,"a",@progbits
	.p2align	6, 0x0
	.amdhsa_kernel _ZN2at6native29vectorized_elementwise_kernelILi8EZZZNS0_12_GLOBAL__N_137scaled_modified_bessel_k0_kernel_cudaERNS_18TensorIteratorBaseEENKUlvE_clEvENKUlvE0_clEvEUlfE_St5arrayIPcLm2EEEEviT0_T1_
		.amdhsa_group_segment_fixed_size 0
		.amdhsa_private_segment_fixed_size 0
		.amdhsa_kernarg_size 24
		.amdhsa_user_sgpr_count 8
		.amdhsa_user_sgpr_private_segment_buffer 1
		.amdhsa_user_sgpr_dispatch_ptr 0
		.amdhsa_user_sgpr_queue_ptr 0
		.amdhsa_user_sgpr_kernarg_segment_ptr 1
		.amdhsa_user_sgpr_dispatch_id 0
		.amdhsa_user_sgpr_flat_scratch_init 1
		.amdhsa_user_sgpr_kernarg_preload_length 0
		.amdhsa_user_sgpr_kernarg_preload_offset 0
		.amdhsa_user_sgpr_private_segment_size 0
		.amdhsa_uses_dynamic_stack 0
		.amdhsa_system_sgpr_private_segment_wavefront_offset 0
		.amdhsa_system_sgpr_workgroup_id_x 1
		.amdhsa_system_sgpr_workgroup_id_y 0
		.amdhsa_system_sgpr_workgroup_id_z 0
		.amdhsa_system_sgpr_workgroup_info 0
		.amdhsa_system_vgpr_workitem_id 0
		.amdhsa_next_free_vgpr 32
		.amdhsa_next_free_sgpr 33
		.amdhsa_accum_offset 32
		.amdhsa_reserve_vcc 1
		.amdhsa_reserve_flat_scratch 1
		.amdhsa_float_round_mode_32 0
		.amdhsa_float_round_mode_16_64 0
		.amdhsa_float_denorm_mode_32 3
		.amdhsa_float_denorm_mode_16_64 3
		.amdhsa_dx10_clamp 1
		.amdhsa_ieee_mode 1
		.amdhsa_fp16_overflow 0
		.amdhsa_tg_split 0
		.amdhsa_exception_fp_ieee_invalid_op 0
		.amdhsa_exception_fp_denorm_src 0
		.amdhsa_exception_fp_ieee_div_zero 0
		.amdhsa_exception_fp_ieee_overflow 0
		.amdhsa_exception_fp_ieee_underflow 0
		.amdhsa_exception_fp_ieee_inexact 0
		.amdhsa_exception_int_div_zero 0
	.end_amdhsa_kernel
	.section	.text._ZN2at6native29vectorized_elementwise_kernelILi8EZZZNS0_12_GLOBAL__N_137scaled_modified_bessel_k0_kernel_cudaERNS_18TensorIteratorBaseEENKUlvE_clEvENKUlvE0_clEvEUlfE_St5arrayIPcLm2EEEEviT0_T1_,"axG",@progbits,_ZN2at6native29vectorized_elementwise_kernelILi8EZZZNS0_12_GLOBAL__N_137scaled_modified_bessel_k0_kernel_cudaERNS_18TensorIteratorBaseEENKUlvE_clEvENKUlvE0_clEvEUlfE_St5arrayIPcLm2EEEEviT0_T1_,comdat
.Lfunc_end15:
	.size	_ZN2at6native29vectorized_elementwise_kernelILi8EZZZNS0_12_GLOBAL__N_137scaled_modified_bessel_k0_kernel_cudaERNS_18TensorIteratorBaseEENKUlvE_clEvENKUlvE0_clEvEUlfE_St5arrayIPcLm2EEEEviT0_T1_, .Lfunc_end15-_ZN2at6native29vectorized_elementwise_kernelILi8EZZZNS0_12_GLOBAL__N_137scaled_modified_bessel_k0_kernel_cudaERNS_18TensorIteratorBaseEENKUlvE_clEvENKUlvE0_clEvEUlfE_St5arrayIPcLm2EEEEviT0_T1_
                                        ; -- End function
	.section	.AMDGPU.csdata,"",@progbits
; Kernel info:
; codeLenInByte = 180
; NumSgprs: 39
; NumVgprs: 32
; NumAgprs: 0
; TotalNumVgprs: 32
; ScratchSize: 0
; MemoryBound: 0
; FloatMode: 240
; IeeeMode: 1
; LDSByteSize: 0 bytes/workgroup (compile time only)
; SGPRBlocks: 4
; VGPRBlocks: 3
; NumSGPRsForWavesPerEU: 39
; NumVGPRsForWavesPerEU: 32
; AccumOffset: 32
; Occupancy: 8
; WaveLimiterHint : 0
; COMPUTE_PGM_RSRC2:SCRATCH_EN: 0
; COMPUTE_PGM_RSRC2:USER_SGPR: 8
; COMPUTE_PGM_RSRC2:TRAP_HANDLER: 0
; COMPUTE_PGM_RSRC2:TGID_X_EN: 1
; COMPUTE_PGM_RSRC2:TGID_Y_EN: 0
; COMPUTE_PGM_RSRC2:TGID_Z_EN: 0
; COMPUTE_PGM_RSRC2:TIDIG_COMP_CNT: 0
; COMPUTE_PGM_RSRC3_GFX90A:ACCUM_OFFSET: 7
; COMPUTE_PGM_RSRC3_GFX90A:TG_SPLIT: 0
	.section	.text._ZN2at6native29vectorized_elementwise_kernelILi4EZZZNS0_12_GLOBAL__N_137scaled_modified_bessel_k0_kernel_cudaERNS_18TensorIteratorBaseEENKUlvE_clEvENKUlvE0_clEvEUlfE_St5arrayIPcLm2EEEEviT0_T1_,"axG",@progbits,_ZN2at6native29vectorized_elementwise_kernelILi4EZZZNS0_12_GLOBAL__N_137scaled_modified_bessel_k0_kernel_cudaERNS_18TensorIteratorBaseEENKUlvE_clEvENKUlvE0_clEvEUlfE_St5arrayIPcLm2EEEEviT0_T1_,comdat
	.globl	_ZN2at6native29vectorized_elementwise_kernelILi4EZZZNS0_12_GLOBAL__N_137scaled_modified_bessel_k0_kernel_cudaERNS_18TensorIteratorBaseEENKUlvE_clEvENKUlvE0_clEvEUlfE_St5arrayIPcLm2EEEEviT0_T1_ ; -- Begin function _ZN2at6native29vectorized_elementwise_kernelILi4EZZZNS0_12_GLOBAL__N_137scaled_modified_bessel_k0_kernel_cudaERNS_18TensorIteratorBaseEENKUlvE_clEvENKUlvE0_clEvEUlfE_St5arrayIPcLm2EEEEviT0_T1_
	.p2align	8
	.type	_ZN2at6native29vectorized_elementwise_kernelILi4EZZZNS0_12_GLOBAL__N_137scaled_modified_bessel_k0_kernel_cudaERNS_18TensorIteratorBaseEENKUlvE_clEvENKUlvE0_clEvEUlfE_St5arrayIPcLm2EEEEviT0_T1_,@function
_ZN2at6native29vectorized_elementwise_kernelILi4EZZZNS0_12_GLOBAL__N_137scaled_modified_bessel_k0_kernel_cudaERNS_18TensorIteratorBaseEENKUlvE_clEvENKUlvE0_clEvEUlfE_St5arrayIPcLm2EEEEviT0_T1_: ; @_ZN2at6native29vectorized_elementwise_kernelILi4EZZZNS0_12_GLOBAL__N_137scaled_modified_bessel_k0_kernel_cudaERNS_18TensorIteratorBaseEENKUlvE_clEvENKUlvE0_clEvEUlfE_St5arrayIPcLm2EEEEviT0_T1_
; %bb.0:
	s_add_u32 flat_scratch_lo, s6, s9
	s_load_dword s6, s[4:5], 0x0
	s_load_dwordx4 s[20:23], s[4:5], 0x8
	s_addc_u32 flat_scratch_hi, s7, 0
	s_add_u32 s0, s0, s9
	s_addc_u32 s1, s1, 0
	s_lshl_b32 s4, s8, 10
	s_waitcnt lgkmcnt(0)
	s_sub_i32 s18, s6, s4
	s_mov_b32 s17, s8
	v_mov_b32_e32 v31, v0
	s_cmpk_gt_i32 s18, 0x3ff
	s_mov_b64 s[4:5], -1
	s_mov_b32 s32, 0
	s_cbranch_scc1 .LBB16_3
; %bb.1:
	s_andn2_b64 vcc, exec, s[4:5]
	s_cbranch_vccz .LBB16_4
.LBB16_2:
	s_endpgm
.LBB16_3:
	s_mov_b32 s12, s17
	v_mov_b32_e32 v0, s20
	v_mov_b32_e32 v1, s21
	;; [unrolled: 1-line block ×4, first 2 shown]
	s_getpc_b64 s[4:5]
	s_add_u32 s4, s4, _ZN2at6native25elementwise_kernel_helperILb0EZZZNS0_12_GLOBAL__N_137scaled_modified_bessel_k0_kernel_cudaERNS_18TensorIteratorBaseEENKUlvE_clEvENKUlvE0_clEvEUlfE_NS0_6memory8policies10vectorizedILi4ESt5arrayIPcLm2EELi4EEEEEvT0_T1_@rel32@lo+4
	s_addc_u32 s5, s5, _ZN2at6native25elementwise_kernel_helperILb0EZZZNS0_12_GLOBAL__N_137scaled_modified_bessel_k0_kernel_cudaERNS_18TensorIteratorBaseEENKUlvE_clEvENKUlvE0_clEvEUlfE_NS0_6memory8policies10vectorizedILi4ESt5arrayIPcLm2EELi4EEEEEvT0_T1_@rel32@hi+12
	s_swappc_b64 s[30:31], s[4:5]
	s_cbranch_execnz .LBB16_2
.LBB16_4:
	s_mov_b32 s12, s17
	v_mov_b32_e32 v0, s20
	v_mov_b32_e32 v1, s21
	;; [unrolled: 1-line block ×5, first 2 shown]
	s_getpc_b64 s[4:5]
	s_add_u32 s4, s4, _ZN2at6native25elementwise_kernel_helperILb0EZZZNS0_12_GLOBAL__N_137scaled_modified_bessel_k0_kernel_cudaERNS_18TensorIteratorBaseEENKUlvE_clEvENKUlvE0_clEvEUlfE_NS0_6memory8policies11unroll_baseILi256ESt5arrayIPcLm2EE23TrivialOffsetCalculatorILi1EjESF_NS8_15LoadWithoutCastENS8_16StoreWithoutCastELi4ELi1EEEEEvT0_T1_@rel32@lo+4
	s_addc_u32 s5, s5, _ZN2at6native25elementwise_kernel_helperILb0EZZZNS0_12_GLOBAL__N_137scaled_modified_bessel_k0_kernel_cudaERNS_18TensorIteratorBaseEENKUlvE_clEvENKUlvE0_clEvEUlfE_NS0_6memory8policies11unroll_baseILi256ESt5arrayIPcLm2EE23TrivialOffsetCalculatorILi1EjESF_NS8_15LoadWithoutCastENS8_16StoreWithoutCastELi4ELi1EEEEEvT0_T1_@rel32@hi+12
	s_swappc_b64 s[30:31], s[4:5]
	s_endpgm
	.section	.rodata,"a",@progbits
	.p2align	6, 0x0
	.amdhsa_kernel _ZN2at6native29vectorized_elementwise_kernelILi4EZZZNS0_12_GLOBAL__N_137scaled_modified_bessel_k0_kernel_cudaERNS_18TensorIteratorBaseEENKUlvE_clEvENKUlvE0_clEvEUlfE_St5arrayIPcLm2EEEEviT0_T1_
		.amdhsa_group_segment_fixed_size 0
		.amdhsa_private_segment_fixed_size 0
		.amdhsa_kernarg_size 24
		.amdhsa_user_sgpr_count 8
		.amdhsa_user_sgpr_private_segment_buffer 1
		.amdhsa_user_sgpr_dispatch_ptr 0
		.amdhsa_user_sgpr_queue_ptr 0
		.amdhsa_user_sgpr_kernarg_segment_ptr 1
		.amdhsa_user_sgpr_dispatch_id 0
		.amdhsa_user_sgpr_flat_scratch_init 1
		.amdhsa_user_sgpr_kernarg_preload_length 0
		.amdhsa_user_sgpr_kernarg_preload_offset 0
		.amdhsa_user_sgpr_private_segment_size 0
		.amdhsa_uses_dynamic_stack 0
		.amdhsa_system_sgpr_private_segment_wavefront_offset 0
		.amdhsa_system_sgpr_workgroup_id_x 1
		.amdhsa_system_sgpr_workgroup_id_y 0
		.amdhsa_system_sgpr_workgroup_id_z 0
		.amdhsa_system_sgpr_workgroup_info 0
		.amdhsa_system_vgpr_workitem_id 0
		.amdhsa_next_free_vgpr 32
		.amdhsa_next_free_sgpr 33
		.amdhsa_accum_offset 32
		.amdhsa_reserve_vcc 1
		.amdhsa_reserve_flat_scratch 1
		.amdhsa_float_round_mode_32 0
		.amdhsa_float_round_mode_16_64 0
		.amdhsa_float_denorm_mode_32 3
		.amdhsa_float_denorm_mode_16_64 3
		.amdhsa_dx10_clamp 1
		.amdhsa_ieee_mode 1
		.amdhsa_fp16_overflow 0
		.amdhsa_tg_split 0
		.amdhsa_exception_fp_ieee_invalid_op 0
		.amdhsa_exception_fp_denorm_src 0
		.amdhsa_exception_fp_ieee_div_zero 0
		.amdhsa_exception_fp_ieee_overflow 0
		.amdhsa_exception_fp_ieee_underflow 0
		.amdhsa_exception_fp_ieee_inexact 0
		.amdhsa_exception_int_div_zero 0
	.end_amdhsa_kernel
	.section	.text._ZN2at6native29vectorized_elementwise_kernelILi4EZZZNS0_12_GLOBAL__N_137scaled_modified_bessel_k0_kernel_cudaERNS_18TensorIteratorBaseEENKUlvE_clEvENKUlvE0_clEvEUlfE_St5arrayIPcLm2EEEEviT0_T1_,"axG",@progbits,_ZN2at6native29vectorized_elementwise_kernelILi4EZZZNS0_12_GLOBAL__N_137scaled_modified_bessel_k0_kernel_cudaERNS_18TensorIteratorBaseEENKUlvE_clEvENKUlvE0_clEvEUlfE_St5arrayIPcLm2EEEEviT0_T1_,comdat
.Lfunc_end16:
	.size	_ZN2at6native29vectorized_elementwise_kernelILi4EZZZNS0_12_GLOBAL__N_137scaled_modified_bessel_k0_kernel_cudaERNS_18TensorIteratorBaseEENKUlvE_clEvENKUlvE0_clEvEUlfE_St5arrayIPcLm2EEEEviT0_T1_, .Lfunc_end16-_ZN2at6native29vectorized_elementwise_kernelILi4EZZZNS0_12_GLOBAL__N_137scaled_modified_bessel_k0_kernel_cudaERNS_18TensorIteratorBaseEENKUlvE_clEvENKUlvE0_clEvEUlfE_St5arrayIPcLm2EEEEviT0_T1_
                                        ; -- End function
	.section	.AMDGPU.csdata,"",@progbits
; Kernel info:
; codeLenInByte = 180
; NumSgprs: 39
; NumVgprs: 32
; NumAgprs: 0
; TotalNumVgprs: 32
; ScratchSize: 0
; MemoryBound: 0
; FloatMode: 240
; IeeeMode: 1
; LDSByteSize: 0 bytes/workgroup (compile time only)
; SGPRBlocks: 4
; VGPRBlocks: 3
; NumSGPRsForWavesPerEU: 39
; NumVGPRsForWavesPerEU: 32
; AccumOffset: 32
; Occupancy: 8
; WaveLimiterHint : 0
; COMPUTE_PGM_RSRC2:SCRATCH_EN: 0
; COMPUTE_PGM_RSRC2:USER_SGPR: 8
; COMPUTE_PGM_RSRC2:TRAP_HANDLER: 0
; COMPUTE_PGM_RSRC2:TGID_X_EN: 1
; COMPUTE_PGM_RSRC2:TGID_Y_EN: 0
; COMPUTE_PGM_RSRC2:TGID_Z_EN: 0
; COMPUTE_PGM_RSRC2:TIDIG_COMP_CNT: 0
; COMPUTE_PGM_RSRC3_GFX90A:ACCUM_OFFSET: 7
; COMPUTE_PGM_RSRC3_GFX90A:TG_SPLIT: 0
	.section	.text._ZN2at6native29vectorized_elementwise_kernelILi2EZZZNS0_12_GLOBAL__N_137scaled_modified_bessel_k0_kernel_cudaERNS_18TensorIteratorBaseEENKUlvE_clEvENKUlvE0_clEvEUlfE_St5arrayIPcLm2EEEEviT0_T1_,"axG",@progbits,_ZN2at6native29vectorized_elementwise_kernelILi2EZZZNS0_12_GLOBAL__N_137scaled_modified_bessel_k0_kernel_cudaERNS_18TensorIteratorBaseEENKUlvE_clEvENKUlvE0_clEvEUlfE_St5arrayIPcLm2EEEEviT0_T1_,comdat
	.globl	_ZN2at6native29vectorized_elementwise_kernelILi2EZZZNS0_12_GLOBAL__N_137scaled_modified_bessel_k0_kernel_cudaERNS_18TensorIteratorBaseEENKUlvE_clEvENKUlvE0_clEvEUlfE_St5arrayIPcLm2EEEEviT0_T1_ ; -- Begin function _ZN2at6native29vectorized_elementwise_kernelILi2EZZZNS0_12_GLOBAL__N_137scaled_modified_bessel_k0_kernel_cudaERNS_18TensorIteratorBaseEENKUlvE_clEvENKUlvE0_clEvEUlfE_St5arrayIPcLm2EEEEviT0_T1_
	.p2align	8
	.type	_ZN2at6native29vectorized_elementwise_kernelILi2EZZZNS0_12_GLOBAL__N_137scaled_modified_bessel_k0_kernel_cudaERNS_18TensorIteratorBaseEENKUlvE_clEvENKUlvE0_clEvEUlfE_St5arrayIPcLm2EEEEviT0_T1_,@function
_ZN2at6native29vectorized_elementwise_kernelILi2EZZZNS0_12_GLOBAL__N_137scaled_modified_bessel_k0_kernel_cudaERNS_18TensorIteratorBaseEENKUlvE_clEvENKUlvE0_clEvEUlfE_St5arrayIPcLm2EEEEviT0_T1_: ; @_ZN2at6native29vectorized_elementwise_kernelILi2EZZZNS0_12_GLOBAL__N_137scaled_modified_bessel_k0_kernel_cudaERNS_18TensorIteratorBaseEENKUlvE_clEvENKUlvE0_clEvEUlfE_St5arrayIPcLm2EEEEviT0_T1_
; %bb.0:
	s_add_u32 flat_scratch_lo, s6, s9
	s_load_dword s6, s[4:5], 0x0
	s_load_dwordx4 s[16:19], s[4:5], 0x8
	s_addc_u32 flat_scratch_hi, s7, 0
	s_add_u32 s0, s0, s9
	s_addc_u32 s1, s1, 0
	s_lshl_b32 s4, s8, 10
	s_waitcnt lgkmcnt(0)
	s_sub_i32 s9, s6, s4
	s_cmpk_gt_i32 s9, 0x3ff
	s_mov_b64 s[6:7], -1
	s_mov_b32 s32, 0
	s_cbranch_scc1 .LBB17_3
; %bb.1:
	s_and_b64 vcc, exec, s[6:7]
	s_cbranch_vccnz .LBB17_52
.LBB17_2:
	s_endpgm
.LBB17_3:
	s_ashr_i32 s5, s4, 31
	s_lshl_b64 s[6:7], s[4:5], 2
	s_add_u32 s4, s18, s6
	s_addc_u32 s5, s19, s7
	v_lshlrev_b32_e32 v1, 3, v0
	global_load_dwordx2 v[6:7], v1, s[4:5]
	global_load_dwordx2 v[4:5], v1, s[4:5] offset:2048
	v_mov_b32_e32 v3, 0x7f800000
	v_mov_b32_e32 v2, 0x7f800000
	s_waitcnt vmcnt(1)
	v_cmp_neq_f32_e32 vcc, 0, v6
	s_and_saveexec_b64 s[10:11], vcc
	s_cbranch_execz .LBB17_15
; %bb.4:
	v_cmp_ngt_f32_e32 vcc, 0, v6
	v_mov_b32_e32 v2, 0x7fc00000
	s_and_saveexec_b64 s[12:13], vcc
	s_cbranch_execz .LBB17_14
; %bb.5:
	v_cmp_ge_f32_e32 vcc, 2.0, v6
	s_and_saveexec_b64 s[4:5], vcc
	s_xor_b64 s[14:15], exec, s[4:5]
	s_cbranch_execz .LBB17_11
; %bb.6:
	s_mov_b32 s4, 0x41000000
	v_mul_f32_e32 v2, 0.5, v6
	v_cmp_ge_f32_e32 vcc, s4, v6
                                        ; implicit-def: $vgpr9
                                        ; implicit-def: $vgpr8
	s_and_saveexec_b64 s[4:5], vcc
	s_xor_b64 s[4:5], exec, s[4:5]
	s_cbranch_execz .LBB17_8
; %bb.7:
	v_add_f32_e32 v8, -2.0, v2
	v_mov_b32_e32 v9, 0x24199b15
	v_fmac_f32_e32 v9, 0xa2a2e5b9, v8
	v_mov_b32_e32 v10, 0x22a2e5b9
	v_fmac_f32_e32 v10, v8, v9
	v_add_f32_e32 v10, 0xa58c275c, v10
	v_fma_f32 v9, v8, v10, -v9
	v_add_f32_e32 v9, 0x26f736c5, v9
	v_fma_f32 v10, v8, v9, -v10
	;; [unrolled: 2-line block ×23, first 2 shown]
	v_mul_f32_e32 v11, 0x3fb8aa3b, v6
	v_add_f32_e32 v9, 0x3d49f456, v9
	s_mov_b32 s20, 0x3fb8aa3b
	v_rndne_f32_e32 v12, v11
	v_fma_f32 v10, v8, v9, -v10
	v_sub_f32_e32 v13, v11, v12
	v_fma_f32 v11, v6, s20, -v11
	v_add_f32_e32 v10, 0xbdc25b82, v10
	v_fmac_f32_e32 v11, 0x32a5705f, v6
	v_fma_f32 v9, v8, v10, -v9
	v_add_f32_e32 v11, v13, v11
	v_add_f32_e32 v9, 0x3e2fbd64, v9
	v_exp_f32_e32 v11, v11
	v_cvt_i32_f32_e32 v12, v12
	v_fma_f32 v10, v8, v9, -v10
	v_add_f32_e32 v10, 0xbe9bff5e, v10
	v_fma_f32 v8, v8, v10, -v9
	s_mov_b32 s20, 0xc2ce8ed0
	v_add_f32_e32 v10, 0x3f2d4275, v8
	v_ldexp_f32 v8, v11, v12
	v_cmp_ngt_f32_e32 vcc, s20, v6
	s_mov_b32 s20, 0x42b17218
	v_cndmask_b32_e32 v8, 0, v8, vcc
	v_mov_b32_e32 v11, 0x7f800000
	v_cmp_nlt_f32_e32 vcc, s20, v6
	v_sub_f32_e32 v9, v10, v9
	v_cndmask_b32_e32 v8, v11, v8, vcc
	v_mul_f32_e32 v9, 0.5, v9
	v_mul_f32_e32 v9, v8, v9
.LBB17_8:
	s_andn2_saveexec_b64 s[20:21], s[4:5]
	s_cbranch_execz .LBB17_10
; %bb.9:
	s_mov_b32 s22, 0x42000000
	v_div_scale_f32 v8, s[4:5], v6, v6, s22
	v_rcp_f32_e32 v9, v8
	v_div_scale_f32 v10, vcc, s22, v6, s22
	s_mov_b32 s4, 0x3fb8aa3b
	v_fma_f32 v11, -v8, v9, 1.0
	v_fmac_f32_e32 v9, v11, v9
	v_mul_f32_e32 v11, v10, v9
	v_fma_f32 v12, -v8, v11, v10
	v_fmac_f32_e32 v11, v12, v9
	v_fma_f32 v8, -v8, v11, v10
	v_div_fmas_f32 v8, v8, v9, v11
	v_div_fixup_f32 v8, v8, v6, s22
	v_add_f32_e32 v8, -2.0, v8
	v_mov_b32_e32 v9, 0xa2b236d3
	v_fmac_f32_e32 v9, 0xa3056dbb, v8
	v_mov_b32_e32 v10, 0x23056dbb
	v_fmac_f32_e32 v10, v8, v9
	v_add_f32_e32 v10, 0x244df0c1, v10
	v_fma_f32 v9, v8, v10, -v9
	v_add_f32_e32 v9, 0x241f9ee8, v9
	v_fma_f32 v10, v8, v9, -v10
	v_add_f32_e32 v10, 0xa5a3005d, v10
	v_fma_f32 v9, v8, v10, -v9
	v_add_f32_e32 v9, 0xa5c5773f, v9
	v_fma_f32 v10, v8, v9, -v10
	v_add_f32_e32 v10, 0x26ff73ed, v10
	v_fma_f32 v9, v8, v10, -v9
	v_add_f32_e32 v9, 0x2789548d, v9
	v_fma_f32 v10, v8, v9, -v10
	v_add_f32_e32 v10, 0xa82c1ff4, v10
	v_fma_f32 v9, v8, v10, -v9
	v_add_f32_e32 v9, 0xa93aecce, v9
	v_fma_f32 v10, v8, v9, -v10
	v_add_f32_e32 v10, 0x288ab7f8, v10
	v_fma_f32 v9, v8, v10, -v9
	v_add_f32_e32 v9, 0x2ad8e463, v9
	v_fma_f32 v10, v8, v9, -v10
	v_add_f32_e32 v10, 0x2b4a1a40, v10
	v_fma_f32 v9, v8, v10, -v9
	v_add_f32_e32 v9, 0xabfc8218, v9
	v_fma_f32 v10, v8, v9, -v10
	v_add_f32_e32 v10, 0xad687eba, v10
	v_fma_f32 v9, v8, v10, -v9
	v_add_f32_e32 v9, 0xae0a88e8, v9
	v_fma_f32 v10, v8, v9, -v10
	v_add_f32_e32 v10, 0x2d5127f5, v10
	v_fma_f32 v9, v8, v10, -v9
	v_add_f32_e32 v9, 0x3007ce66, v9
	v_fma_f32 v10, v8, v9, -v10
	v_add_f32_e32 v10, 0x31696325, v10
	v_fma_f32 v9, v8, v10, -v9
	v_add_f32_e32 v9, 0x32c2b494, v9
	v_fma_f32 v10, v8, v9, -v10
	v_mul_f32_e32 v11, 0x3fb8aa3b, v6
	v_add_f32_e32 v10, 0x345c003f, v10
	v_rndne_f32_e32 v12, v11
	v_fma_f32 v9, v8, v10, -v9
	v_sub_f32_e32 v13, v11, v12
	v_fma_f32 v11, v6, s4, -v11
	v_add_f32_e32 v9, 0x3642095e, v9
	v_fmac_f32_e32 v11, 0x32a5705f, v6
	v_fma_f32 v10, v8, v9, -v10
	v_add_f32_e32 v11, v13, v11
	v_add_f32_e32 v10, 0x38907d1c, v10
	v_exp_f32_e32 v11, v11
	v_cvt_i32_f32_e32 v12, v12
	v_fma_f32 v9, v8, v10, -v9
	v_add_f32_e32 v9, 0x3b5ccc65, v9
	v_fma_f32 v8, v8, v9, -v10
	s_mov_b32 s4, 0xc2ce8ed0
	v_add_f32_e32 v9, 0x3f4df315, v8
	v_ldexp_f32 v8, v11, v12
	v_cmp_ngt_f32_e32 vcc, s4, v6
	s_mov_b32 s4, 0x42b17218
	v_cndmask_b32_e32 v8, 0, v8, vcc
	v_mov_b32_e32 v11, 0x7f800000
	v_cmp_nlt_f32_e32 vcc, s4, v6
	s_mov_b32 s4, 0xf800000
	v_cndmask_b32_e32 v8, v11, v8, vcc
	v_mul_f32_e32 v11, 0x4f800000, v6
	v_cmp_gt_f32_e32 vcc, s4, v6
	v_cndmask_b32_e32 v11, v6, v11, vcc
	v_sqrt_f32_e32 v12, v11
	v_sub_f32_e32 v9, v9, v10
	v_mul_f32_e32 v9, 0.5, v9
	v_mul_f32_e32 v9, v8, v9
	v_add_u32_e32 v10, -1, v12
	v_fma_f32 v13, -v10, v12, v11
	v_cmp_ge_f32_e64 s[4:5], 0, v13
	v_add_u32_e32 v13, 1, v12
	v_cndmask_b32_e64 v10, v12, v10, s[4:5]
	v_fma_f32 v12, -v13, v12, v11
	v_cmp_lt_f32_e64 s[4:5], 0, v12
	v_cndmask_b32_e64 v10, v10, v13, s[4:5]
	v_mul_f32_e32 v12, 0x37800000, v10
	v_cndmask_b32_e32 v10, v10, v12, vcc
	v_mov_b32_e32 v12, 0x260
	v_cmp_class_f32_e32 vcc, v11, v12
	v_cndmask_b32_e32 v10, v10, v11, vcc
	v_div_scale_f32 v11, s[4:5], v10, v10, v9
	v_rcp_f32_e32 v12, v11
	v_fma_f32 v13, -v11, v12, 1.0
	v_fmac_f32_e32 v12, v13, v12
	v_div_scale_f32 v13, vcc, v9, v10, v9
	v_mul_f32_e32 v14, v13, v12
	v_fma_f32 v15, -v11, v14, v13
	v_fmac_f32_e32 v14, v15, v12
	v_fma_f32 v11, -v11, v14, v13
	v_div_fmas_f32 v11, v11, v12, v14
	v_div_fixup_f32 v9, v11, v10, v9
.LBB17_10:
	s_or_b64 exec, exec, s[20:21]
	v_fma_f32 v10, v6, v6, -2.0
	v_mov_b32_e32 v11, 0x293fd856
	v_fmac_f32_e32 v11, 0x251e770f, v10
	v_mov_b32_e32 v12, 0xa51e770f
	v_fmac_f32_e32 v12, v10, v11
	v_add_f32_e32 v12, 0x2d3612e2, v12
	v_fma_f32 v11, v10, v12, -v11
	v_add_f32_e32 v11, 0x3102e09b, v11
	v_fma_f32 v12, v10, v11, -v12
	v_add_f32_e32 v12, 0x348815e7, v12
	v_fma_f32 v11, v10, v12, -v11
	v_add_f32_e32 v11, 0x37bfc808, v11
	v_fma_f32 v12, v10, v11, -v12
	v_add_f32_e32 v12, 0x3aa5c174, v12
	v_fma_f32 v11, v10, v12, -v11
	v_add_f32_e32 v11, 0x3d135fb3, v11
	v_fma_f32 v12, v10, v11, -v12
	v_add_f32_e32 v12, 0x3eb046c4, v12
	s_mov_b32 s4, 0x800000
	v_fma_f32 v10, v10, v12, -v11
	v_mov_b32_e32 v12, 0x4f800000
	v_cmp_gt_f32_e32 vcc, s4, v2
	v_cndmask_b32_e32 v12, 1.0, v12, vcc
	v_mul_f32_e32 v2, v2, v12
	v_log_f32_e32 v2, v2
	v_add_f32_e32 v10, 0xbf090b37, v10
	v_sub_f32_e32 v10, v10, v11
	s_mov_b32 s4, 0x3f317217
	v_mul_f32_e32 v11, 0x3f317217, v2
	v_fma_f32 v12, v2, s4, -v11
	v_fmac_f32_e32 v12, 0x3377d1cf, v2
	s_mov_b32 s4, 0x7f800000
	v_add_f32_e32 v11, v11, v12
	v_cmp_lt_f32_e64 s[4:5], |v2|, s4
	v_cndmask_b32_e64 v2, v2, v11, s[4:5]
	v_mov_b32_e32 v11, 0x41b17218
	v_cndmask_b32_e32 v11, 0, v11, vcc
	v_sub_f32_e32 v2, v2, v11
	v_mul_f32_e32 v2, v2, v9
	v_fma_f32 v2, v10, 0.5, -v2
	v_mul_f32_e32 v2, v8, v2
.LBB17_11:
	s_andn2_saveexec_b64 s[14:15], s[14:15]
	s_cbranch_execz .LBB17_13
; %bb.12:
	s_mov_b32 s20, 0x41000000
	v_div_scale_f32 v2, s[4:5], v6, v6, s20
	v_rcp_f32_e32 v8, v2
	v_div_scale_f32 v9, vcc, s20, v6, s20
	s_mov_b32 s4, 0xf800000
	v_fma_f32 v10, -v2, v8, 1.0
	v_fmac_f32_e32 v8, v10, v8
	v_mul_f32_e32 v10, v9, v8
	v_fma_f32 v11, -v2, v10, v9
	v_fmac_f32_e32 v10, v11, v8
	v_fma_f32 v2, -v2, v10, v9
	v_div_fmas_f32 v2, v2, v8, v10
	v_div_fixup_f32 v2, v2, v6, s20
	v_add_f32_e32 v2, -2.0, v2
	v_mov_b32_e32 v8, 0xa397f665
	v_fmac_f32_e32 v8, 0x22c38d2e, v2
	v_mov_b32_e32 v9, 0xa2c38d2e
	v_fmac_f32_e32 v9, v2, v8
	v_add_f32_e32 v9, 0x24704972, v9
	v_fma_f32 v8, v2, v9, -v8
	v_add_f32_e32 v8, 0xa5417ca4, v8
	v_fma_f32 v9, v2, v8, -v9
	;; [unrolled: 2-line block ×22, first 2 shown]
	v_mul_f32_e32 v8, 0x4f800000, v6
	v_cmp_gt_f32_e32 vcc, s4, v6
	v_cndmask_b32_e32 v6, v6, v8, vcc
	v_sqrt_f32_e32 v8, v6
	v_add_f32_e32 v2, 0x401c2ded, v2
	v_sub_f32_e32 v2, v2, v9
	v_mul_f32_e32 v2, 0.5, v2
	v_add_u32_e32 v9, -1, v8
	v_fma_f32 v10, -v9, v8, v6
	v_cmp_ge_f32_e64 s[4:5], 0, v10
	v_add_u32_e32 v10, 1, v8
	v_cndmask_b32_e64 v9, v8, v9, s[4:5]
	v_fma_f32 v8, -v10, v8, v6
	v_cmp_lt_f32_e64 s[4:5], 0, v8
	v_cndmask_b32_e64 v8, v9, v10, s[4:5]
	v_mul_f32_e32 v9, 0x37800000, v8
	v_cndmask_b32_e32 v8, v8, v9, vcc
	v_mov_b32_e32 v9, 0x260
	v_cmp_class_f32_e32 vcc, v6, v9
	v_cndmask_b32_e32 v6, v8, v6, vcc
	v_div_scale_f32 v8, s[4:5], v6, v6, v2
	v_rcp_f32_e32 v9, v8
	v_fma_f32 v10, -v8, v9, 1.0
	v_fmac_f32_e32 v9, v10, v9
	v_div_scale_f32 v10, vcc, v2, v6, v2
	v_mul_f32_e32 v11, v10, v9
	v_fma_f32 v12, -v8, v11, v10
	v_fmac_f32_e32 v11, v12, v9
	v_fma_f32 v8, -v8, v11, v10
	v_div_fmas_f32 v8, v8, v9, v11
	v_div_fixup_f32 v2, v8, v6, v2
.LBB17_13:
	s_or_b64 exec, exec, s[14:15]
.LBB17_14:
	s_or_b64 exec, exec, s[12:13]
.LBB17_15:
	s_or_b64 exec, exec, s[10:11]
	v_cmp_neq_f32_e32 vcc, 0, v7
	s_and_saveexec_b64 s[10:11], vcc
	s_cbranch_execz .LBB17_27
; %bb.16:
	v_cmp_ngt_f32_e32 vcc, 0, v7
	v_mov_b32_e32 v3, 0x7fc00000
	s_and_saveexec_b64 s[12:13], vcc
	s_cbranch_execz .LBB17_26
; %bb.17:
	v_cmp_ge_f32_e32 vcc, 2.0, v7
	s_and_saveexec_b64 s[4:5], vcc
	s_xor_b64 s[14:15], exec, s[4:5]
	s_cbranch_execz .LBB17_23
; %bb.18:
	s_mov_b32 s4, 0x41000000
	v_mul_f32_e32 v3, 0.5, v7
	v_cmp_ge_f32_e32 vcc, s4, v7
                                        ; implicit-def: $vgpr8
                                        ; implicit-def: $vgpr6
	s_and_saveexec_b64 s[4:5], vcc
	s_xor_b64 s[4:5], exec, s[4:5]
	s_cbranch_execz .LBB17_20
; %bb.19:
	v_add_f32_e32 v6, -2.0, v3
	v_mov_b32_e32 v8, 0x24199b15
	v_fmac_f32_e32 v8, 0xa2a2e5b9, v6
	v_mov_b32_e32 v9, 0x22a2e5b9
	v_fmac_f32_e32 v9, v6, v8
	v_add_f32_e32 v9, 0xa58c275c, v9
	v_fma_f32 v8, v6, v9, -v8
	v_add_f32_e32 v8, 0x26f736c5, v8
	v_fma_f32 v9, v6, v8, -v9
	;; [unrolled: 2-line block ×23, first 2 shown]
	v_mul_f32_e32 v10, 0x3fb8aa3b, v7
	v_add_f32_e32 v8, 0x3d49f456, v8
	s_mov_b32 s20, 0x3fb8aa3b
	v_rndne_f32_e32 v11, v10
	v_fma_f32 v9, v6, v8, -v9
	v_sub_f32_e32 v12, v10, v11
	v_fma_f32 v10, v7, s20, -v10
	v_add_f32_e32 v9, 0xbdc25b82, v9
	v_fmac_f32_e32 v10, 0x32a5705f, v7
	v_fma_f32 v8, v6, v9, -v8
	v_add_f32_e32 v10, v12, v10
	v_add_f32_e32 v8, 0x3e2fbd64, v8
	v_exp_f32_e32 v10, v10
	v_cvt_i32_f32_e32 v11, v11
	v_fma_f32 v9, v6, v8, -v9
	v_add_f32_e32 v9, 0xbe9bff5e, v9
	v_fma_f32 v6, v6, v9, -v8
	s_mov_b32 s20, 0xc2ce8ed0
	v_add_f32_e32 v9, 0x3f2d4275, v6
	v_ldexp_f32 v6, v10, v11
	v_cmp_ngt_f32_e32 vcc, s20, v7
	s_mov_b32 s20, 0x42b17218
	v_cndmask_b32_e32 v6, 0, v6, vcc
	v_mov_b32_e32 v10, 0x7f800000
	v_cmp_nlt_f32_e32 vcc, s20, v7
	v_sub_f32_e32 v8, v9, v8
	v_cndmask_b32_e32 v6, v10, v6, vcc
	v_mul_f32_e32 v8, 0.5, v8
	v_mul_f32_e32 v8, v6, v8
.LBB17_20:
	s_andn2_saveexec_b64 s[20:21], s[4:5]
	s_cbranch_execz .LBB17_22
; %bb.21:
	s_mov_b32 s22, 0x42000000
	v_div_scale_f32 v6, s[4:5], v7, v7, s22
	v_rcp_f32_e32 v8, v6
	v_div_scale_f32 v9, vcc, s22, v7, s22
	s_mov_b32 s4, 0x3fb8aa3b
	v_fma_f32 v10, -v6, v8, 1.0
	v_fmac_f32_e32 v8, v10, v8
	v_mul_f32_e32 v10, v9, v8
	v_fma_f32 v11, -v6, v10, v9
	v_fmac_f32_e32 v10, v11, v8
	v_fma_f32 v6, -v6, v10, v9
	v_div_fmas_f32 v6, v6, v8, v10
	v_div_fixup_f32 v6, v6, v7, s22
	v_add_f32_e32 v6, -2.0, v6
	v_mov_b32_e32 v8, 0xa2b236d3
	v_fmac_f32_e32 v8, 0xa3056dbb, v6
	v_mov_b32_e32 v9, 0x23056dbb
	v_fmac_f32_e32 v9, v6, v8
	v_add_f32_e32 v9, 0x244df0c1, v9
	v_fma_f32 v8, v6, v9, -v8
	v_add_f32_e32 v8, 0x241f9ee8, v8
	v_fma_f32 v9, v6, v8, -v9
	;; [unrolled: 2-line block ×18, first 2 shown]
	v_mul_f32_e32 v10, 0x3fb8aa3b, v7
	v_add_f32_e32 v9, 0x345c003f, v9
	v_rndne_f32_e32 v11, v10
	v_fma_f32 v8, v6, v9, -v8
	v_sub_f32_e32 v12, v10, v11
	v_fma_f32 v10, v7, s4, -v10
	v_add_f32_e32 v8, 0x3642095e, v8
	v_fmac_f32_e32 v10, 0x32a5705f, v7
	v_fma_f32 v9, v6, v8, -v9
	v_add_f32_e32 v10, v12, v10
	v_add_f32_e32 v9, 0x38907d1c, v9
	v_exp_f32_e32 v10, v10
	v_cvt_i32_f32_e32 v11, v11
	v_fma_f32 v8, v6, v9, -v8
	v_add_f32_e32 v8, 0x3b5ccc65, v8
	v_fma_f32 v6, v6, v8, -v9
	s_mov_b32 s4, 0xc2ce8ed0
	v_add_f32_e32 v8, 0x3f4df315, v6
	v_ldexp_f32 v6, v10, v11
	v_cmp_ngt_f32_e32 vcc, s4, v7
	s_mov_b32 s4, 0x42b17218
	v_cndmask_b32_e32 v6, 0, v6, vcc
	v_mov_b32_e32 v10, 0x7f800000
	v_cmp_nlt_f32_e32 vcc, s4, v7
	s_mov_b32 s4, 0xf800000
	v_cndmask_b32_e32 v6, v10, v6, vcc
	v_mul_f32_e32 v10, 0x4f800000, v7
	v_cmp_gt_f32_e32 vcc, s4, v7
	v_cndmask_b32_e32 v10, v7, v10, vcc
	v_sqrt_f32_e32 v11, v10
	v_sub_f32_e32 v8, v8, v9
	v_mul_f32_e32 v8, 0.5, v8
	v_mul_f32_e32 v8, v6, v8
	v_add_u32_e32 v9, -1, v11
	v_fma_f32 v12, -v9, v11, v10
	v_cmp_ge_f32_e64 s[4:5], 0, v12
	v_add_u32_e32 v12, 1, v11
	v_cndmask_b32_e64 v9, v11, v9, s[4:5]
	v_fma_f32 v11, -v12, v11, v10
	v_cmp_lt_f32_e64 s[4:5], 0, v11
	v_cndmask_b32_e64 v9, v9, v12, s[4:5]
	v_mul_f32_e32 v11, 0x37800000, v9
	v_cndmask_b32_e32 v9, v9, v11, vcc
	v_mov_b32_e32 v11, 0x260
	v_cmp_class_f32_e32 vcc, v10, v11
	v_cndmask_b32_e32 v9, v9, v10, vcc
	v_div_scale_f32 v10, s[4:5], v9, v9, v8
	v_rcp_f32_e32 v11, v10
	v_fma_f32 v12, -v10, v11, 1.0
	v_fmac_f32_e32 v11, v12, v11
	v_div_scale_f32 v12, vcc, v8, v9, v8
	v_mul_f32_e32 v13, v12, v11
	v_fma_f32 v14, -v10, v13, v12
	v_fmac_f32_e32 v13, v14, v11
	v_fma_f32 v10, -v10, v13, v12
	v_div_fmas_f32 v10, v10, v11, v13
	v_div_fixup_f32 v8, v10, v9, v8
.LBB17_22:
	s_or_b64 exec, exec, s[20:21]
	v_fma_f32 v7, v7, v7, -2.0
	v_mov_b32_e32 v9, 0x293fd856
	v_fmac_f32_e32 v9, 0x251e770f, v7
	v_mov_b32_e32 v10, 0xa51e770f
	v_fmac_f32_e32 v10, v7, v9
	v_add_f32_e32 v10, 0x2d3612e2, v10
	v_fma_f32 v9, v7, v10, -v9
	v_add_f32_e32 v9, 0x3102e09b, v9
	v_fma_f32 v10, v7, v9, -v10
	v_add_f32_e32 v10, 0x348815e7, v10
	v_fma_f32 v9, v7, v10, -v9
	v_add_f32_e32 v9, 0x37bfc808, v9
	v_fma_f32 v10, v7, v9, -v10
	v_add_f32_e32 v10, 0x3aa5c174, v10
	v_fma_f32 v9, v7, v10, -v9
	v_add_f32_e32 v9, 0x3d135fb3, v9
	v_fma_f32 v10, v7, v9, -v10
	v_add_f32_e32 v10, 0x3eb046c4, v10
	s_mov_b32 s4, 0x800000
	v_fma_f32 v7, v7, v10, -v9
	v_mov_b32_e32 v10, 0x4f800000
	v_cmp_gt_f32_e32 vcc, s4, v3
	v_cndmask_b32_e32 v10, 1.0, v10, vcc
	v_mul_f32_e32 v3, v3, v10
	v_log_f32_e32 v3, v3
	v_add_f32_e32 v7, 0xbf090b37, v7
	v_sub_f32_e32 v7, v7, v9
	s_mov_b32 s4, 0x3f317217
	v_mul_f32_e32 v9, 0x3f317217, v3
	v_fma_f32 v10, v3, s4, -v9
	v_fmac_f32_e32 v10, 0x3377d1cf, v3
	s_mov_b32 s4, 0x7f800000
	v_add_f32_e32 v9, v9, v10
	v_cmp_lt_f32_e64 s[4:5], |v3|, s4
	v_cndmask_b32_e64 v3, v3, v9, s[4:5]
	v_mov_b32_e32 v9, 0x41b17218
	v_cndmask_b32_e32 v9, 0, v9, vcc
	v_sub_f32_e32 v3, v3, v9
	v_mul_f32_e32 v3, v3, v8
	v_fma_f32 v3, v7, 0.5, -v3
	v_mul_f32_e32 v3, v6, v3
                                        ; implicit-def: $vgpr6_vgpr7
.LBB17_23:
	s_andn2_saveexec_b64 s[14:15], s[14:15]
	s_cbranch_execz .LBB17_25
; %bb.24:
	s_mov_b32 s20, 0x41000000
	v_div_scale_f32 v3, s[4:5], v7, v7, s20
	v_rcp_f32_e32 v6, v3
	v_div_scale_f32 v8, vcc, s20, v7, s20
	s_mov_b32 s4, 0xf800000
	v_fma_f32 v9, -v3, v6, 1.0
	v_fmac_f32_e32 v6, v9, v6
	v_mul_f32_e32 v9, v8, v6
	v_fma_f32 v10, -v3, v9, v8
	v_fmac_f32_e32 v9, v10, v6
	v_fma_f32 v3, -v3, v9, v8
	v_div_fmas_f32 v3, v3, v6, v9
	v_div_fixup_f32 v3, v3, v7, s20
	v_add_f32_e32 v3, -2.0, v3
	v_mov_b32_e32 v6, 0xa397f665
	v_fmac_f32_e32 v6, 0x22c38d2e, v3
	v_mov_b32_e32 v8, 0xa2c38d2e
	v_fmac_f32_e32 v8, v3, v6
	v_add_f32_e32 v8, 0x24704972, v8
	v_fma_f32 v6, v3, v8, -v6
	v_add_f32_e32 v6, 0xa5417ca4, v6
	v_fma_f32 v8, v3, v6, -v8
	;; [unrolled: 2-line block ×22, first 2 shown]
	v_mul_f32_e32 v6, 0x4f800000, v7
	v_cmp_gt_f32_e32 vcc, s4, v7
	v_cndmask_b32_e32 v6, v7, v6, vcc
	v_sqrt_f32_e32 v7, v6
	v_add_f32_e32 v3, 0x401c2ded, v3
	v_sub_f32_e32 v3, v3, v8
	v_mul_f32_e32 v3, 0.5, v3
	v_add_u32_e32 v8, -1, v7
	v_fma_f32 v9, -v8, v7, v6
	v_cmp_ge_f32_e64 s[4:5], 0, v9
	v_add_u32_e32 v9, 1, v7
	v_cndmask_b32_e64 v8, v7, v8, s[4:5]
	v_fma_f32 v7, -v9, v7, v6
	v_cmp_lt_f32_e64 s[4:5], 0, v7
	v_cndmask_b32_e64 v7, v8, v9, s[4:5]
	v_mul_f32_e32 v8, 0x37800000, v7
	v_cndmask_b32_e32 v7, v7, v8, vcc
	v_mov_b32_e32 v8, 0x260
	v_cmp_class_f32_e32 vcc, v6, v8
	v_cndmask_b32_e32 v6, v7, v6, vcc
	v_div_scale_f32 v7, s[4:5], v6, v6, v3
	v_rcp_f32_e32 v8, v7
	v_fma_f32 v9, -v7, v8, 1.0
	v_fmac_f32_e32 v8, v9, v8
	v_div_scale_f32 v9, vcc, v3, v6, v3
	v_mul_f32_e32 v10, v9, v8
	v_fma_f32 v11, -v7, v10, v9
	v_fmac_f32_e32 v10, v11, v8
	v_fma_f32 v7, -v7, v10, v9
	v_div_fmas_f32 v7, v7, v8, v10
	v_div_fixup_f32 v3, v7, v6, v3
.LBB17_25:
	s_or_b64 exec, exec, s[14:15]
.LBB17_26:
	s_or_b64 exec, exec, s[12:13]
.LBB17_27:
	s_or_b64 exec, exec, s[10:11]
	s_waitcnt vmcnt(0)
	v_cmp_neq_f32_e32 vcc, 0, v4
	v_mov_b32_e32 v7, 0x7f800000
	v_mov_b32_e32 v6, 0x7f800000
	s_and_saveexec_b64 s[10:11], vcc
	s_cbranch_execz .LBB17_39
; %bb.28:
	v_cmp_ngt_f32_e32 vcc, 0, v4
	v_mov_b32_e32 v6, 0x7fc00000
	s_and_saveexec_b64 s[12:13], vcc
	s_cbranch_execz .LBB17_38
; %bb.29:
	v_cmp_ge_f32_e32 vcc, 2.0, v4
	s_and_saveexec_b64 s[4:5], vcc
	s_xor_b64 s[14:15], exec, s[4:5]
	s_cbranch_execz .LBB17_35
; %bb.30:
	s_mov_b32 s4, 0x41000000
	v_mul_f32_e32 v6, 0.5, v4
	v_cmp_ge_f32_e32 vcc, s4, v4
                                        ; implicit-def: $vgpr9
                                        ; implicit-def: $vgpr8
	s_and_saveexec_b64 s[4:5], vcc
	s_xor_b64 s[4:5], exec, s[4:5]
	s_cbranch_execz .LBB17_32
; %bb.31:
	v_add_f32_e32 v8, -2.0, v6
	v_mov_b32_e32 v9, 0x24199b15
	v_fmac_f32_e32 v9, 0xa2a2e5b9, v8
	v_mov_b32_e32 v10, 0x22a2e5b9
	v_fmac_f32_e32 v10, v8, v9
	v_add_f32_e32 v10, 0xa58c275c, v10
	v_fma_f32 v9, v8, v10, -v9
	v_add_f32_e32 v9, 0x26f736c5, v9
	v_fma_f32 v10, v8, v9, -v10
	;; [unrolled: 2-line block ×23, first 2 shown]
	v_mul_f32_e32 v11, 0x3fb8aa3b, v4
	v_add_f32_e32 v9, 0x3d49f456, v9
	s_mov_b32 s20, 0x3fb8aa3b
	v_rndne_f32_e32 v12, v11
	v_fma_f32 v10, v8, v9, -v10
	v_sub_f32_e32 v13, v11, v12
	v_fma_f32 v11, v4, s20, -v11
	v_add_f32_e32 v10, 0xbdc25b82, v10
	v_fmac_f32_e32 v11, 0x32a5705f, v4
	v_fma_f32 v9, v8, v10, -v9
	v_add_f32_e32 v11, v13, v11
	v_add_f32_e32 v9, 0x3e2fbd64, v9
	v_exp_f32_e32 v11, v11
	v_cvt_i32_f32_e32 v12, v12
	v_fma_f32 v10, v8, v9, -v10
	v_add_f32_e32 v10, 0xbe9bff5e, v10
	v_fma_f32 v8, v8, v10, -v9
	s_mov_b32 s20, 0xc2ce8ed0
	v_add_f32_e32 v10, 0x3f2d4275, v8
	v_ldexp_f32 v8, v11, v12
	v_cmp_ngt_f32_e32 vcc, s20, v4
	s_mov_b32 s20, 0x42b17218
	v_cndmask_b32_e32 v8, 0, v8, vcc
	v_mov_b32_e32 v11, 0x7f800000
	v_cmp_nlt_f32_e32 vcc, s20, v4
	v_sub_f32_e32 v9, v10, v9
	v_cndmask_b32_e32 v8, v11, v8, vcc
	v_mul_f32_e32 v9, 0.5, v9
	v_mul_f32_e32 v9, v8, v9
.LBB17_32:
	s_andn2_saveexec_b64 s[20:21], s[4:5]
	s_cbranch_execz .LBB17_34
; %bb.33:
	s_mov_b32 s22, 0x42000000
	v_div_scale_f32 v8, s[4:5], v4, v4, s22
	v_rcp_f32_e32 v9, v8
	v_div_scale_f32 v10, vcc, s22, v4, s22
	s_mov_b32 s4, 0x3fb8aa3b
	v_fma_f32 v11, -v8, v9, 1.0
	v_fmac_f32_e32 v9, v11, v9
	v_mul_f32_e32 v11, v10, v9
	v_fma_f32 v12, -v8, v11, v10
	v_fmac_f32_e32 v11, v12, v9
	v_fma_f32 v8, -v8, v11, v10
	v_div_fmas_f32 v8, v8, v9, v11
	v_div_fixup_f32 v8, v8, v4, s22
	v_add_f32_e32 v8, -2.0, v8
	v_mov_b32_e32 v9, 0xa2b236d3
	v_fmac_f32_e32 v9, 0xa3056dbb, v8
	v_mov_b32_e32 v10, 0x23056dbb
	v_fmac_f32_e32 v10, v8, v9
	v_add_f32_e32 v10, 0x244df0c1, v10
	v_fma_f32 v9, v8, v10, -v9
	v_add_f32_e32 v9, 0x241f9ee8, v9
	v_fma_f32 v10, v8, v9, -v10
	;; [unrolled: 2-line block ×18, first 2 shown]
	v_mul_f32_e32 v11, 0x3fb8aa3b, v4
	v_add_f32_e32 v10, 0x345c003f, v10
	v_rndne_f32_e32 v12, v11
	v_fma_f32 v9, v8, v10, -v9
	v_sub_f32_e32 v13, v11, v12
	v_fma_f32 v11, v4, s4, -v11
	v_add_f32_e32 v9, 0x3642095e, v9
	v_fmac_f32_e32 v11, 0x32a5705f, v4
	v_fma_f32 v10, v8, v9, -v10
	v_add_f32_e32 v11, v13, v11
	v_add_f32_e32 v10, 0x38907d1c, v10
	v_exp_f32_e32 v11, v11
	v_cvt_i32_f32_e32 v12, v12
	v_fma_f32 v9, v8, v10, -v9
	v_add_f32_e32 v9, 0x3b5ccc65, v9
	v_fma_f32 v8, v8, v9, -v10
	s_mov_b32 s4, 0xc2ce8ed0
	v_add_f32_e32 v9, 0x3f4df315, v8
	v_ldexp_f32 v8, v11, v12
	v_cmp_ngt_f32_e32 vcc, s4, v4
	s_mov_b32 s4, 0x42b17218
	v_cndmask_b32_e32 v8, 0, v8, vcc
	v_mov_b32_e32 v11, 0x7f800000
	v_cmp_nlt_f32_e32 vcc, s4, v4
	s_mov_b32 s4, 0xf800000
	v_cndmask_b32_e32 v8, v11, v8, vcc
	v_mul_f32_e32 v11, 0x4f800000, v4
	v_cmp_gt_f32_e32 vcc, s4, v4
	v_cndmask_b32_e32 v11, v4, v11, vcc
	v_sqrt_f32_e32 v12, v11
	v_sub_f32_e32 v9, v9, v10
	v_mul_f32_e32 v9, 0.5, v9
	v_mul_f32_e32 v9, v8, v9
	v_add_u32_e32 v10, -1, v12
	v_fma_f32 v13, -v10, v12, v11
	v_cmp_ge_f32_e64 s[4:5], 0, v13
	v_add_u32_e32 v13, 1, v12
	v_cndmask_b32_e64 v10, v12, v10, s[4:5]
	v_fma_f32 v12, -v13, v12, v11
	v_cmp_lt_f32_e64 s[4:5], 0, v12
	v_cndmask_b32_e64 v10, v10, v13, s[4:5]
	v_mul_f32_e32 v12, 0x37800000, v10
	v_cndmask_b32_e32 v10, v10, v12, vcc
	v_mov_b32_e32 v12, 0x260
	v_cmp_class_f32_e32 vcc, v11, v12
	v_cndmask_b32_e32 v10, v10, v11, vcc
	v_div_scale_f32 v11, s[4:5], v10, v10, v9
	v_rcp_f32_e32 v12, v11
	v_fma_f32 v13, -v11, v12, 1.0
	v_fmac_f32_e32 v12, v13, v12
	v_div_scale_f32 v13, vcc, v9, v10, v9
	v_mul_f32_e32 v14, v13, v12
	v_fma_f32 v15, -v11, v14, v13
	v_fmac_f32_e32 v14, v15, v12
	v_fma_f32 v11, -v11, v14, v13
	v_div_fmas_f32 v11, v11, v12, v14
	v_div_fixup_f32 v9, v11, v10, v9
.LBB17_34:
	s_or_b64 exec, exec, s[20:21]
	v_fma_f32 v10, v4, v4, -2.0
	v_mov_b32_e32 v11, 0x293fd856
	v_fmac_f32_e32 v11, 0x251e770f, v10
	v_mov_b32_e32 v12, 0xa51e770f
	v_fmac_f32_e32 v12, v10, v11
	v_add_f32_e32 v12, 0x2d3612e2, v12
	v_fma_f32 v11, v10, v12, -v11
	v_add_f32_e32 v11, 0x3102e09b, v11
	v_fma_f32 v12, v10, v11, -v12
	v_add_f32_e32 v12, 0x348815e7, v12
	v_fma_f32 v11, v10, v12, -v11
	v_add_f32_e32 v11, 0x37bfc808, v11
	v_fma_f32 v12, v10, v11, -v12
	v_add_f32_e32 v12, 0x3aa5c174, v12
	v_fma_f32 v11, v10, v12, -v11
	v_add_f32_e32 v11, 0x3d135fb3, v11
	v_fma_f32 v12, v10, v11, -v12
	v_add_f32_e32 v12, 0x3eb046c4, v12
	s_mov_b32 s4, 0x800000
	v_fma_f32 v10, v10, v12, -v11
	v_mov_b32_e32 v12, 0x4f800000
	v_cmp_gt_f32_e32 vcc, s4, v6
	v_cndmask_b32_e32 v12, 1.0, v12, vcc
	v_mul_f32_e32 v6, v6, v12
	v_log_f32_e32 v6, v6
	v_add_f32_e32 v10, 0xbf090b37, v10
	v_sub_f32_e32 v10, v10, v11
	s_mov_b32 s4, 0x3f317217
	v_mul_f32_e32 v11, 0x3f317217, v6
	v_fma_f32 v12, v6, s4, -v11
	v_fmac_f32_e32 v12, 0x3377d1cf, v6
	s_mov_b32 s4, 0x7f800000
	v_add_f32_e32 v11, v11, v12
	v_cmp_lt_f32_e64 s[4:5], |v6|, s4
	v_cndmask_b32_e64 v6, v6, v11, s[4:5]
	v_mov_b32_e32 v11, 0x41b17218
	v_cndmask_b32_e32 v11, 0, v11, vcc
	v_sub_f32_e32 v6, v6, v11
	v_mul_f32_e32 v6, v6, v9
	v_fma_f32 v6, v10, 0.5, -v6
	v_mul_f32_e32 v6, v8, v6
.LBB17_35:
	s_andn2_saveexec_b64 s[14:15], s[14:15]
	s_cbranch_execz .LBB17_37
; %bb.36:
	s_mov_b32 s20, 0x41000000
	v_div_scale_f32 v6, s[4:5], v4, v4, s20
	v_rcp_f32_e32 v8, v6
	v_div_scale_f32 v9, vcc, s20, v4, s20
	s_mov_b32 s4, 0xf800000
	v_fma_f32 v10, -v6, v8, 1.0
	v_fmac_f32_e32 v8, v10, v8
	v_mul_f32_e32 v10, v9, v8
	v_fma_f32 v11, -v6, v10, v9
	v_fmac_f32_e32 v10, v11, v8
	v_fma_f32 v6, -v6, v10, v9
	v_div_fmas_f32 v6, v6, v8, v10
	v_div_fixup_f32 v6, v6, v4, s20
	v_add_f32_e32 v6, -2.0, v6
	v_mov_b32_e32 v8, 0xa397f665
	v_fmac_f32_e32 v8, 0x22c38d2e, v6
	v_mov_b32_e32 v9, 0xa2c38d2e
	v_fmac_f32_e32 v9, v6, v8
	v_add_f32_e32 v9, 0x24704972, v9
	v_fma_f32 v8, v6, v9, -v8
	v_add_f32_e32 v8, 0xa5417ca4, v8
	v_fma_f32 v9, v6, v8, -v9
	;; [unrolled: 2-line block ×22, first 2 shown]
	v_mul_f32_e32 v8, 0x4f800000, v4
	v_cmp_gt_f32_e32 vcc, s4, v4
	v_cndmask_b32_e32 v4, v4, v8, vcc
	v_sqrt_f32_e32 v8, v4
	v_add_f32_e32 v6, 0x401c2ded, v6
	v_sub_f32_e32 v6, v6, v9
	v_mul_f32_e32 v6, 0.5, v6
	v_add_u32_e32 v9, -1, v8
	v_fma_f32 v10, -v9, v8, v4
	v_cmp_ge_f32_e64 s[4:5], 0, v10
	v_add_u32_e32 v10, 1, v8
	v_cndmask_b32_e64 v9, v8, v9, s[4:5]
	v_fma_f32 v8, -v10, v8, v4
	v_cmp_lt_f32_e64 s[4:5], 0, v8
	v_cndmask_b32_e64 v8, v9, v10, s[4:5]
	v_mul_f32_e32 v9, 0x37800000, v8
	v_cndmask_b32_e32 v8, v8, v9, vcc
	v_mov_b32_e32 v9, 0x260
	v_cmp_class_f32_e32 vcc, v4, v9
	v_cndmask_b32_e32 v4, v8, v4, vcc
	v_div_scale_f32 v8, s[4:5], v4, v4, v6
	v_rcp_f32_e32 v9, v8
	v_fma_f32 v10, -v8, v9, 1.0
	v_fmac_f32_e32 v9, v10, v9
	v_div_scale_f32 v10, vcc, v6, v4, v6
	v_mul_f32_e32 v11, v10, v9
	v_fma_f32 v12, -v8, v11, v10
	v_fmac_f32_e32 v11, v12, v9
	v_fma_f32 v8, -v8, v11, v10
	v_div_fmas_f32 v8, v8, v9, v11
	v_div_fixup_f32 v6, v8, v4, v6
.LBB17_37:
	s_or_b64 exec, exec, s[14:15]
.LBB17_38:
	s_or_b64 exec, exec, s[12:13]
.LBB17_39:
	s_or_b64 exec, exec, s[10:11]
	v_cmp_neq_f32_e32 vcc, 0, v5
	s_and_saveexec_b64 s[10:11], vcc
	s_cbranch_execz .LBB17_51
; %bb.40:
	v_cmp_ngt_f32_e32 vcc, 0, v5
	v_mov_b32_e32 v7, 0x7fc00000
	s_and_saveexec_b64 s[12:13], vcc
	s_cbranch_execz .LBB17_50
; %bb.41:
	v_cmp_ge_f32_e32 vcc, 2.0, v5
	s_and_saveexec_b64 s[4:5], vcc
	s_xor_b64 s[14:15], exec, s[4:5]
	s_cbranch_execz .LBB17_47
; %bb.42:
	s_mov_b32 s4, 0x41000000
	v_mul_f32_e32 v4, 0.5, v5
	v_cmp_ge_f32_e32 vcc, s4, v5
                                        ; implicit-def: $vgpr8
                                        ; implicit-def: $vgpr7
	s_and_saveexec_b64 s[4:5], vcc
	s_xor_b64 s[4:5], exec, s[4:5]
	s_cbranch_execz .LBB17_44
; %bb.43:
	v_add_f32_e32 v7, -2.0, v4
	v_mov_b32_e32 v8, 0x24199b15
	v_fmac_f32_e32 v8, 0xa2a2e5b9, v7
	v_mov_b32_e32 v9, 0x22a2e5b9
	v_fmac_f32_e32 v9, v7, v8
	v_add_f32_e32 v9, 0xa58c275c, v9
	v_fma_f32 v8, v7, v9, -v8
	v_add_f32_e32 v8, 0x26f736c5, v8
	v_fma_f32 v9, v7, v8, -v9
	;; [unrolled: 2-line block ×23, first 2 shown]
	v_mul_f32_e32 v10, 0x3fb8aa3b, v5
	v_add_f32_e32 v8, 0x3d49f456, v8
	s_mov_b32 s20, 0x3fb8aa3b
	v_rndne_f32_e32 v11, v10
	v_fma_f32 v9, v7, v8, -v9
	v_sub_f32_e32 v12, v10, v11
	v_fma_f32 v10, v5, s20, -v10
	v_add_f32_e32 v9, 0xbdc25b82, v9
	v_fmac_f32_e32 v10, 0x32a5705f, v5
	v_fma_f32 v8, v7, v9, -v8
	v_add_f32_e32 v10, v12, v10
	v_add_f32_e32 v8, 0x3e2fbd64, v8
	v_exp_f32_e32 v10, v10
	v_cvt_i32_f32_e32 v11, v11
	v_fma_f32 v9, v7, v8, -v9
	v_add_f32_e32 v9, 0xbe9bff5e, v9
	v_fma_f32 v7, v7, v9, -v8
	s_mov_b32 s20, 0xc2ce8ed0
	v_add_f32_e32 v9, 0x3f2d4275, v7
	v_ldexp_f32 v7, v10, v11
	v_cmp_ngt_f32_e32 vcc, s20, v5
	s_mov_b32 s20, 0x42b17218
	v_cndmask_b32_e32 v7, 0, v7, vcc
	v_mov_b32_e32 v10, 0x7f800000
	v_cmp_nlt_f32_e32 vcc, s20, v5
	v_sub_f32_e32 v8, v9, v8
	v_cndmask_b32_e32 v7, v10, v7, vcc
	v_mul_f32_e32 v8, 0.5, v8
	v_mul_f32_e32 v8, v7, v8
.LBB17_44:
	s_andn2_saveexec_b64 s[20:21], s[4:5]
	s_cbranch_execz .LBB17_46
; %bb.45:
	s_mov_b32 s22, 0x42000000
	v_div_scale_f32 v7, s[4:5], v5, v5, s22
	v_rcp_f32_e32 v8, v7
	v_div_scale_f32 v9, vcc, s22, v5, s22
	s_mov_b32 s4, 0x3fb8aa3b
	v_fma_f32 v10, -v7, v8, 1.0
	v_fmac_f32_e32 v8, v10, v8
	v_mul_f32_e32 v10, v9, v8
	v_fma_f32 v11, -v7, v10, v9
	v_fmac_f32_e32 v10, v11, v8
	v_fma_f32 v7, -v7, v10, v9
	v_div_fmas_f32 v7, v7, v8, v10
	v_div_fixup_f32 v7, v7, v5, s22
	v_add_f32_e32 v7, -2.0, v7
	v_mov_b32_e32 v8, 0xa2b236d3
	v_fmac_f32_e32 v8, 0xa3056dbb, v7
	v_mov_b32_e32 v9, 0x23056dbb
	v_fmac_f32_e32 v9, v7, v8
	v_add_f32_e32 v9, 0x244df0c1, v9
	v_fma_f32 v8, v7, v9, -v8
	v_add_f32_e32 v8, 0x241f9ee8, v8
	v_fma_f32 v9, v7, v8, -v9
	;; [unrolled: 2-line block ×18, first 2 shown]
	v_mul_f32_e32 v10, 0x3fb8aa3b, v5
	v_add_f32_e32 v9, 0x345c003f, v9
	v_rndne_f32_e32 v11, v10
	v_fma_f32 v8, v7, v9, -v8
	v_sub_f32_e32 v12, v10, v11
	v_fma_f32 v10, v5, s4, -v10
	v_add_f32_e32 v8, 0x3642095e, v8
	v_fmac_f32_e32 v10, 0x32a5705f, v5
	v_fma_f32 v9, v7, v8, -v9
	v_add_f32_e32 v10, v12, v10
	v_add_f32_e32 v9, 0x38907d1c, v9
	v_exp_f32_e32 v10, v10
	v_cvt_i32_f32_e32 v11, v11
	v_fma_f32 v8, v7, v9, -v8
	v_add_f32_e32 v8, 0x3b5ccc65, v8
	v_fma_f32 v7, v7, v8, -v9
	s_mov_b32 s4, 0xc2ce8ed0
	v_add_f32_e32 v8, 0x3f4df315, v7
	v_ldexp_f32 v7, v10, v11
	v_cmp_ngt_f32_e32 vcc, s4, v5
	s_mov_b32 s4, 0x42b17218
	v_cndmask_b32_e32 v7, 0, v7, vcc
	v_mov_b32_e32 v10, 0x7f800000
	v_cmp_nlt_f32_e32 vcc, s4, v5
	s_mov_b32 s4, 0xf800000
	v_cndmask_b32_e32 v7, v10, v7, vcc
	v_mul_f32_e32 v10, 0x4f800000, v5
	v_cmp_gt_f32_e32 vcc, s4, v5
	v_cndmask_b32_e32 v10, v5, v10, vcc
	v_sqrt_f32_e32 v11, v10
	v_sub_f32_e32 v8, v8, v9
	v_mul_f32_e32 v8, 0.5, v8
	v_mul_f32_e32 v8, v7, v8
	v_add_u32_e32 v9, -1, v11
	v_fma_f32 v12, -v9, v11, v10
	v_cmp_ge_f32_e64 s[4:5], 0, v12
	v_add_u32_e32 v12, 1, v11
	v_cndmask_b32_e64 v9, v11, v9, s[4:5]
	v_fma_f32 v11, -v12, v11, v10
	v_cmp_lt_f32_e64 s[4:5], 0, v11
	v_cndmask_b32_e64 v9, v9, v12, s[4:5]
	v_mul_f32_e32 v11, 0x37800000, v9
	v_cndmask_b32_e32 v9, v9, v11, vcc
	v_mov_b32_e32 v11, 0x260
	v_cmp_class_f32_e32 vcc, v10, v11
	v_cndmask_b32_e32 v9, v9, v10, vcc
	v_div_scale_f32 v10, s[4:5], v9, v9, v8
	v_rcp_f32_e32 v11, v10
	v_fma_f32 v12, -v10, v11, 1.0
	v_fmac_f32_e32 v11, v12, v11
	v_div_scale_f32 v12, vcc, v8, v9, v8
	v_mul_f32_e32 v13, v12, v11
	v_fma_f32 v14, -v10, v13, v12
	v_fmac_f32_e32 v13, v14, v11
	v_fma_f32 v10, -v10, v13, v12
	v_div_fmas_f32 v10, v10, v11, v13
	v_div_fixup_f32 v8, v10, v9, v8
.LBB17_46:
	s_or_b64 exec, exec, s[20:21]
	v_fma_f32 v5, v5, v5, -2.0
	v_mov_b32_e32 v9, 0x293fd856
	v_fmac_f32_e32 v9, 0x251e770f, v5
	v_mov_b32_e32 v10, 0xa51e770f
	v_fmac_f32_e32 v10, v5, v9
	v_add_f32_e32 v10, 0x2d3612e2, v10
	v_fma_f32 v9, v5, v10, -v9
	v_add_f32_e32 v9, 0x3102e09b, v9
	v_fma_f32 v10, v5, v9, -v10
	;; [unrolled: 2-line block ×6, first 2 shown]
	v_add_f32_e32 v10, 0x3eb046c4, v10
	s_mov_b32 s4, 0x800000
	v_fma_f32 v5, v5, v10, -v9
	v_mov_b32_e32 v10, 0x4f800000
	v_cmp_gt_f32_e32 vcc, s4, v4
	v_cndmask_b32_e32 v10, 1.0, v10, vcc
	v_mul_f32_e32 v4, v4, v10
	v_log_f32_e32 v4, v4
	v_add_f32_e32 v5, 0xbf090b37, v5
	v_sub_f32_e32 v5, v5, v9
	s_mov_b32 s4, 0x3f317217
	v_mul_f32_e32 v9, 0x3f317217, v4
	v_fma_f32 v10, v4, s4, -v9
	v_fmac_f32_e32 v10, 0x3377d1cf, v4
	s_mov_b32 s4, 0x7f800000
	v_add_f32_e32 v9, v9, v10
	v_cmp_lt_f32_e64 s[4:5], |v4|, s4
	v_cndmask_b32_e64 v4, v4, v9, s[4:5]
	v_mov_b32_e32 v9, 0x41b17218
	v_cndmask_b32_e32 v9, 0, v9, vcc
	v_sub_f32_e32 v4, v4, v9
	v_mul_f32_e32 v4, v4, v8
	v_fma_f32 v4, v5, 0.5, -v4
	v_mul_f32_e32 v7, v7, v4
                                        ; implicit-def: $vgpr4_vgpr5
.LBB17_47:
	s_andn2_saveexec_b64 s[14:15], s[14:15]
	s_cbranch_execz .LBB17_49
; %bb.48:
	s_mov_b32 s20, 0x41000000
	v_div_scale_f32 v4, s[4:5], v5, v5, s20
	v_rcp_f32_e32 v7, v4
	v_div_scale_f32 v8, vcc, s20, v5, s20
	s_mov_b32 s4, 0xf800000
	v_fma_f32 v9, -v4, v7, 1.0
	v_fmac_f32_e32 v7, v9, v7
	v_mul_f32_e32 v9, v8, v7
	v_fma_f32 v10, -v4, v9, v8
	v_fmac_f32_e32 v9, v10, v7
	v_fma_f32 v4, -v4, v9, v8
	v_div_fmas_f32 v4, v4, v7, v9
	v_div_fixup_f32 v4, v4, v5, s20
	v_add_f32_e32 v4, -2.0, v4
	v_mov_b32_e32 v7, 0xa397f665
	v_fmac_f32_e32 v7, 0x22c38d2e, v4
	v_mov_b32_e32 v8, 0xa2c38d2e
	v_fmac_f32_e32 v8, v4, v7
	v_add_f32_e32 v8, 0x24704972, v8
	v_fma_f32 v7, v4, v8, -v7
	v_add_f32_e32 v7, 0xa5417ca4, v7
	v_fma_f32 v8, v4, v7, -v8
	;; [unrolled: 2-line block ×22, first 2 shown]
	v_mul_f32_e32 v7, 0x4f800000, v5
	v_cmp_gt_f32_e32 vcc, s4, v5
	v_cndmask_b32_e32 v5, v5, v7, vcc
	v_sqrt_f32_e32 v7, v5
	v_add_f32_e32 v4, 0x401c2ded, v4
	v_sub_f32_e32 v4, v4, v8
	v_mul_f32_e32 v4, 0.5, v4
	v_add_u32_e32 v8, -1, v7
	v_fma_f32 v9, -v8, v7, v5
	v_cmp_ge_f32_e64 s[4:5], 0, v9
	v_add_u32_e32 v9, 1, v7
	v_cndmask_b32_e64 v8, v7, v8, s[4:5]
	v_fma_f32 v7, -v9, v7, v5
	v_cmp_lt_f32_e64 s[4:5], 0, v7
	v_cndmask_b32_e64 v7, v8, v9, s[4:5]
	v_mul_f32_e32 v8, 0x37800000, v7
	v_cndmask_b32_e32 v7, v7, v8, vcc
	v_mov_b32_e32 v8, 0x260
	v_cmp_class_f32_e32 vcc, v5, v8
	v_cndmask_b32_e32 v5, v7, v5, vcc
	v_div_scale_f32 v7, s[4:5], v5, v5, v4
	v_rcp_f32_e32 v8, v7
	v_fma_f32 v9, -v7, v8, 1.0
	v_fmac_f32_e32 v8, v9, v8
	v_div_scale_f32 v9, vcc, v4, v5, v4
	v_mul_f32_e32 v10, v9, v8
	v_fma_f32 v11, -v7, v10, v9
	v_fmac_f32_e32 v10, v11, v8
	v_fma_f32 v7, -v7, v10, v9
	v_div_fmas_f32 v7, v7, v8, v10
	v_div_fixup_f32 v7, v7, v5, v4
.LBB17_49:
	s_or_b64 exec, exec, s[14:15]
.LBB17_50:
	s_or_b64 exec, exec, s[12:13]
.LBB17_51:
	s_or_b64 exec, exec, s[10:11]
	s_add_u32 s4, s16, s6
	s_addc_u32 s5, s17, s7
	global_store_dwordx2 v1, v[2:3], s[4:5]
	global_store_dwordx2 v1, v[6:7], s[4:5] offset:2048
	s_branch .LBB17_2
.LBB17_52:
	s_mov_b32 s12, s8
	v_mov_b32_e32 v31, v0
	v_mov_b32_e32 v0, s16
	;; [unrolled: 1-line block ×6, first 2 shown]
	s_getpc_b64 s[4:5]
	s_add_u32 s4, s4, _ZN2at6native25elementwise_kernel_helperILb0EZZZNS0_12_GLOBAL__N_137scaled_modified_bessel_k0_kernel_cudaERNS_18TensorIteratorBaseEENKUlvE_clEvENKUlvE0_clEvEUlfE_NS0_6memory8policies11unroll_baseILi256ESt5arrayIPcLm2EE23TrivialOffsetCalculatorILi1EjESF_NS8_15LoadWithoutCastENS8_16StoreWithoutCastELi4ELi1EEEEEvT0_T1_@rel32@lo+4
	s_addc_u32 s5, s5, _ZN2at6native25elementwise_kernel_helperILb0EZZZNS0_12_GLOBAL__N_137scaled_modified_bessel_k0_kernel_cudaERNS_18TensorIteratorBaseEENKUlvE_clEvENKUlvE0_clEvEUlfE_NS0_6memory8policies11unroll_baseILi256ESt5arrayIPcLm2EE23TrivialOffsetCalculatorILi1EjESF_NS8_15LoadWithoutCastENS8_16StoreWithoutCastELi4ELi1EEEEEvT0_T1_@rel32@hi+12
	s_swappc_b64 s[30:31], s[4:5]
	s_endpgm
	.section	.rodata,"a",@progbits
	.p2align	6, 0x0
	.amdhsa_kernel _ZN2at6native29vectorized_elementwise_kernelILi2EZZZNS0_12_GLOBAL__N_137scaled_modified_bessel_k0_kernel_cudaERNS_18TensorIteratorBaseEENKUlvE_clEvENKUlvE0_clEvEUlfE_St5arrayIPcLm2EEEEviT0_T1_
		.amdhsa_group_segment_fixed_size 0
		.amdhsa_private_segment_fixed_size 0
		.amdhsa_kernarg_size 24
		.amdhsa_user_sgpr_count 8
		.amdhsa_user_sgpr_private_segment_buffer 1
		.amdhsa_user_sgpr_dispatch_ptr 0
		.amdhsa_user_sgpr_queue_ptr 0
		.amdhsa_user_sgpr_kernarg_segment_ptr 1
		.amdhsa_user_sgpr_dispatch_id 0
		.amdhsa_user_sgpr_flat_scratch_init 1
		.amdhsa_user_sgpr_kernarg_preload_length 0
		.amdhsa_user_sgpr_kernarg_preload_offset 0
		.amdhsa_user_sgpr_private_segment_size 0
		.amdhsa_uses_dynamic_stack 0
		.amdhsa_system_sgpr_private_segment_wavefront_offset 0
		.amdhsa_system_sgpr_workgroup_id_x 1
		.amdhsa_system_sgpr_workgroup_id_y 0
		.amdhsa_system_sgpr_workgroup_id_z 0
		.amdhsa_system_sgpr_workgroup_info 0
		.amdhsa_system_vgpr_workitem_id 0
		.amdhsa_next_free_vgpr 32
		.amdhsa_next_free_sgpr 33
		.amdhsa_accum_offset 32
		.amdhsa_reserve_vcc 1
		.amdhsa_reserve_flat_scratch 1
		.amdhsa_float_round_mode_32 0
		.amdhsa_float_round_mode_16_64 0
		.amdhsa_float_denorm_mode_32 3
		.amdhsa_float_denorm_mode_16_64 3
		.amdhsa_dx10_clamp 1
		.amdhsa_ieee_mode 1
		.amdhsa_fp16_overflow 0
		.amdhsa_tg_split 0
		.amdhsa_exception_fp_ieee_invalid_op 0
		.amdhsa_exception_fp_denorm_src 0
		.amdhsa_exception_fp_ieee_div_zero 0
		.amdhsa_exception_fp_ieee_overflow 0
		.amdhsa_exception_fp_ieee_underflow 0
		.amdhsa_exception_fp_ieee_inexact 0
		.amdhsa_exception_int_div_zero 0
	.end_amdhsa_kernel
	.section	.text._ZN2at6native29vectorized_elementwise_kernelILi2EZZZNS0_12_GLOBAL__N_137scaled_modified_bessel_k0_kernel_cudaERNS_18TensorIteratorBaseEENKUlvE_clEvENKUlvE0_clEvEUlfE_St5arrayIPcLm2EEEEviT0_T1_,"axG",@progbits,_ZN2at6native29vectorized_elementwise_kernelILi2EZZZNS0_12_GLOBAL__N_137scaled_modified_bessel_k0_kernel_cudaERNS_18TensorIteratorBaseEENKUlvE_clEvENKUlvE0_clEvEUlfE_St5arrayIPcLm2EEEEviT0_T1_,comdat
.Lfunc_end17:
	.size	_ZN2at6native29vectorized_elementwise_kernelILi2EZZZNS0_12_GLOBAL__N_137scaled_modified_bessel_k0_kernel_cudaERNS_18TensorIteratorBaseEENKUlvE_clEvENKUlvE0_clEvEUlfE_St5arrayIPcLm2EEEEviT0_T1_, .Lfunc_end17-_ZN2at6native29vectorized_elementwise_kernelILi2EZZZNS0_12_GLOBAL__N_137scaled_modified_bessel_k0_kernel_cudaERNS_18TensorIteratorBaseEENKUlvE_clEvENKUlvE0_clEvEUlfE_St5arrayIPcLm2EEEEviT0_T1_
                                        ; -- End function
	.section	.AMDGPU.csdata,"",@progbits
; Kernel info:
; codeLenInByte = 9864
; NumSgprs: 39
; NumVgprs: 32
; NumAgprs: 0
; TotalNumVgprs: 32
; ScratchSize: 0
; MemoryBound: 0
; FloatMode: 240
; IeeeMode: 1
; LDSByteSize: 0 bytes/workgroup (compile time only)
; SGPRBlocks: 4
; VGPRBlocks: 3
; NumSGPRsForWavesPerEU: 39
; NumVGPRsForWavesPerEU: 32
; AccumOffset: 32
; Occupancy: 8
; WaveLimiterHint : 1
; COMPUTE_PGM_RSRC2:SCRATCH_EN: 0
; COMPUTE_PGM_RSRC2:USER_SGPR: 8
; COMPUTE_PGM_RSRC2:TRAP_HANDLER: 0
; COMPUTE_PGM_RSRC2:TGID_X_EN: 1
; COMPUTE_PGM_RSRC2:TGID_Y_EN: 0
; COMPUTE_PGM_RSRC2:TGID_Z_EN: 0
; COMPUTE_PGM_RSRC2:TIDIG_COMP_CNT: 0
; COMPUTE_PGM_RSRC3_GFX90A:ACCUM_OFFSET: 7
; COMPUTE_PGM_RSRC3_GFX90A:TG_SPLIT: 0
	.section	.text._ZN2at6native27unrolled_elementwise_kernelIZZZNS0_12_GLOBAL__N_137scaled_modified_bessel_k0_kernel_cudaERNS_18TensorIteratorBaseEENKUlvE_clEvENKUlvE0_clEvEUlfE_St5arrayIPcLm2EELi4E23TrivialOffsetCalculatorILi1EjESC_NS0_6memory15LoadWithoutCastENSD_16StoreWithoutCastEEEviT_T0_T2_T3_T4_T5_,"axG",@progbits,_ZN2at6native27unrolled_elementwise_kernelIZZZNS0_12_GLOBAL__N_137scaled_modified_bessel_k0_kernel_cudaERNS_18TensorIteratorBaseEENKUlvE_clEvENKUlvE0_clEvEUlfE_St5arrayIPcLm2EELi4E23TrivialOffsetCalculatorILi1EjESC_NS0_6memory15LoadWithoutCastENSD_16StoreWithoutCastEEEviT_T0_T2_T3_T4_T5_,comdat
	.globl	_ZN2at6native27unrolled_elementwise_kernelIZZZNS0_12_GLOBAL__N_137scaled_modified_bessel_k0_kernel_cudaERNS_18TensorIteratorBaseEENKUlvE_clEvENKUlvE0_clEvEUlfE_St5arrayIPcLm2EELi4E23TrivialOffsetCalculatorILi1EjESC_NS0_6memory15LoadWithoutCastENSD_16StoreWithoutCastEEEviT_T0_T2_T3_T4_T5_ ; -- Begin function _ZN2at6native27unrolled_elementwise_kernelIZZZNS0_12_GLOBAL__N_137scaled_modified_bessel_k0_kernel_cudaERNS_18TensorIteratorBaseEENKUlvE_clEvENKUlvE0_clEvEUlfE_St5arrayIPcLm2EELi4E23TrivialOffsetCalculatorILi1EjESC_NS0_6memory15LoadWithoutCastENSD_16StoreWithoutCastEEEviT_T0_T2_T3_T4_T5_
	.p2align	8
	.type	_ZN2at6native27unrolled_elementwise_kernelIZZZNS0_12_GLOBAL__N_137scaled_modified_bessel_k0_kernel_cudaERNS_18TensorIteratorBaseEENKUlvE_clEvENKUlvE0_clEvEUlfE_St5arrayIPcLm2EELi4E23TrivialOffsetCalculatorILi1EjESC_NS0_6memory15LoadWithoutCastENSD_16StoreWithoutCastEEEviT_T0_T2_T3_T4_T5_,@function
_ZN2at6native27unrolled_elementwise_kernelIZZZNS0_12_GLOBAL__N_137scaled_modified_bessel_k0_kernel_cudaERNS_18TensorIteratorBaseEENKUlvE_clEvENKUlvE0_clEvEUlfE_St5arrayIPcLm2EELi4E23TrivialOffsetCalculatorILi1EjESC_NS0_6memory15LoadWithoutCastENSD_16StoreWithoutCastEEEviT_T0_T2_T3_T4_T5_: ; @_ZN2at6native27unrolled_elementwise_kernelIZZZNS0_12_GLOBAL__N_137scaled_modified_bessel_k0_kernel_cudaERNS_18TensorIteratorBaseEENKUlvE_clEvENKUlvE0_clEvEUlfE_St5arrayIPcLm2EELi4E23TrivialOffsetCalculatorILi1EjESC_NS0_6memory15LoadWithoutCastENSD_16StoreWithoutCastEEEviT_T0_T2_T3_T4_T5_
; %bb.0:
	s_add_u32 flat_scratch_lo, s6, s9
	s_load_dword s6, s[4:5], 0x0
	s_load_dwordx4 s[16:19], s[4:5], 0x8
	s_addc_u32 flat_scratch_hi, s7, 0
	s_add_u32 s0, s0, s9
	s_addc_u32 s1, s1, 0
	s_lshl_b32 s4, s8, 10
	s_waitcnt lgkmcnt(0)
	s_sub_i32 s6, s6, s4
	s_mov_b32 s12, s8
	v_mov_b32_e32 v31, v0
	v_mov_b32_e32 v0, s16
	;; [unrolled: 1-line block ×6, first 2 shown]
	s_mov_b32 s32, 0
	s_getpc_b64 s[4:5]
	s_add_u32 s4, s4, _ZN2at6native25elementwise_kernel_helperILb0EZZZNS0_12_GLOBAL__N_137scaled_modified_bessel_k0_kernel_cudaERNS_18TensorIteratorBaseEENKUlvE_clEvENKUlvE0_clEvEUlfE_NS0_6memory8policies11unroll_baseILi256ESt5arrayIPcLm2EE23TrivialOffsetCalculatorILi1EjESF_NS8_15LoadWithoutCastENS8_16StoreWithoutCastELi4ELi1EEEEEvT0_T1_@rel32@lo+4
	s_addc_u32 s5, s5, _ZN2at6native25elementwise_kernel_helperILb0EZZZNS0_12_GLOBAL__N_137scaled_modified_bessel_k0_kernel_cudaERNS_18TensorIteratorBaseEENKUlvE_clEvENKUlvE0_clEvEUlfE_NS0_6memory8policies11unroll_baseILi256ESt5arrayIPcLm2EE23TrivialOffsetCalculatorILi1EjESF_NS8_15LoadWithoutCastENS8_16StoreWithoutCastELi4ELi1EEEEEvT0_T1_@rel32@hi+12
	s_swappc_b64 s[30:31], s[4:5]
	s_endpgm
	.section	.rodata,"a",@progbits
	.p2align	6, 0x0
	.amdhsa_kernel _ZN2at6native27unrolled_elementwise_kernelIZZZNS0_12_GLOBAL__N_137scaled_modified_bessel_k0_kernel_cudaERNS_18TensorIteratorBaseEENKUlvE_clEvENKUlvE0_clEvEUlfE_St5arrayIPcLm2EELi4E23TrivialOffsetCalculatorILi1EjESC_NS0_6memory15LoadWithoutCastENSD_16StoreWithoutCastEEEviT_T0_T2_T3_T4_T5_
		.amdhsa_group_segment_fixed_size 0
		.amdhsa_private_segment_fixed_size 0
		.amdhsa_kernarg_size 28
		.amdhsa_user_sgpr_count 8
		.amdhsa_user_sgpr_private_segment_buffer 1
		.amdhsa_user_sgpr_dispatch_ptr 0
		.amdhsa_user_sgpr_queue_ptr 0
		.amdhsa_user_sgpr_kernarg_segment_ptr 1
		.amdhsa_user_sgpr_dispatch_id 0
		.amdhsa_user_sgpr_flat_scratch_init 1
		.amdhsa_user_sgpr_kernarg_preload_length 0
		.amdhsa_user_sgpr_kernarg_preload_offset 0
		.amdhsa_user_sgpr_private_segment_size 0
		.amdhsa_uses_dynamic_stack 0
		.amdhsa_system_sgpr_private_segment_wavefront_offset 0
		.amdhsa_system_sgpr_workgroup_id_x 1
		.amdhsa_system_sgpr_workgroup_id_y 0
		.amdhsa_system_sgpr_workgroup_id_z 0
		.amdhsa_system_sgpr_workgroup_info 0
		.amdhsa_system_vgpr_workitem_id 0
		.amdhsa_next_free_vgpr 32
		.amdhsa_next_free_sgpr 33
		.amdhsa_accum_offset 32
		.amdhsa_reserve_vcc 1
		.amdhsa_reserve_flat_scratch 1
		.amdhsa_float_round_mode_32 0
		.amdhsa_float_round_mode_16_64 0
		.amdhsa_float_denorm_mode_32 3
		.amdhsa_float_denorm_mode_16_64 3
		.amdhsa_dx10_clamp 1
		.amdhsa_ieee_mode 1
		.amdhsa_fp16_overflow 0
		.amdhsa_tg_split 0
		.amdhsa_exception_fp_ieee_invalid_op 0
		.amdhsa_exception_fp_denorm_src 0
		.amdhsa_exception_fp_ieee_div_zero 0
		.amdhsa_exception_fp_ieee_overflow 0
		.amdhsa_exception_fp_ieee_underflow 0
		.amdhsa_exception_fp_ieee_inexact 0
		.amdhsa_exception_int_div_zero 0
	.end_amdhsa_kernel
	.section	.text._ZN2at6native27unrolled_elementwise_kernelIZZZNS0_12_GLOBAL__N_137scaled_modified_bessel_k0_kernel_cudaERNS_18TensorIteratorBaseEENKUlvE_clEvENKUlvE0_clEvEUlfE_St5arrayIPcLm2EELi4E23TrivialOffsetCalculatorILi1EjESC_NS0_6memory15LoadWithoutCastENSD_16StoreWithoutCastEEEviT_T0_T2_T3_T4_T5_,"axG",@progbits,_ZN2at6native27unrolled_elementwise_kernelIZZZNS0_12_GLOBAL__N_137scaled_modified_bessel_k0_kernel_cudaERNS_18TensorIteratorBaseEENKUlvE_clEvENKUlvE0_clEvEUlfE_St5arrayIPcLm2EELi4E23TrivialOffsetCalculatorILi1EjESC_NS0_6memory15LoadWithoutCastENSD_16StoreWithoutCastEEEviT_T0_T2_T3_T4_T5_,comdat
.Lfunc_end18:
	.size	_ZN2at6native27unrolled_elementwise_kernelIZZZNS0_12_GLOBAL__N_137scaled_modified_bessel_k0_kernel_cudaERNS_18TensorIteratorBaseEENKUlvE_clEvENKUlvE0_clEvEUlfE_St5arrayIPcLm2EELi4E23TrivialOffsetCalculatorILi1EjESC_NS0_6memory15LoadWithoutCastENSD_16StoreWithoutCastEEEviT_T0_T2_T3_T4_T5_, .Lfunc_end18-_ZN2at6native27unrolled_elementwise_kernelIZZZNS0_12_GLOBAL__N_137scaled_modified_bessel_k0_kernel_cudaERNS_18TensorIteratorBaseEENKUlvE_clEvENKUlvE0_clEvEUlfE_St5arrayIPcLm2EELi4E23TrivialOffsetCalculatorILi1EjESC_NS0_6memory15LoadWithoutCastENSD_16StoreWithoutCastEEEviT_T0_T2_T3_T4_T5_
                                        ; -- End function
	.section	.AMDGPU.csdata,"",@progbits
; Kernel info:
; codeLenInByte = 104
; NumSgprs: 39
; NumVgprs: 32
; NumAgprs: 0
; TotalNumVgprs: 32
; ScratchSize: 0
; MemoryBound: 0
; FloatMode: 240
; IeeeMode: 1
; LDSByteSize: 0 bytes/workgroup (compile time only)
; SGPRBlocks: 4
; VGPRBlocks: 3
; NumSGPRsForWavesPerEU: 39
; NumVGPRsForWavesPerEU: 32
; AccumOffset: 32
; Occupancy: 8
; WaveLimiterHint : 0
; COMPUTE_PGM_RSRC2:SCRATCH_EN: 0
; COMPUTE_PGM_RSRC2:USER_SGPR: 8
; COMPUTE_PGM_RSRC2:TRAP_HANDLER: 0
; COMPUTE_PGM_RSRC2:TGID_X_EN: 1
; COMPUTE_PGM_RSRC2:TGID_Y_EN: 0
; COMPUTE_PGM_RSRC2:TGID_Z_EN: 0
; COMPUTE_PGM_RSRC2:TIDIG_COMP_CNT: 0
; COMPUTE_PGM_RSRC3_GFX90A:ACCUM_OFFSET: 7
; COMPUTE_PGM_RSRC3_GFX90A:TG_SPLIT: 0
	.section	.text._ZN2at6native32elementwise_kernel_manual_unrollILi128ELi4EZNS0_22gpu_kernel_impl_nocastIZZZNS0_12_GLOBAL__N_137scaled_modified_bessel_k0_kernel_cudaERNS_18TensorIteratorBaseEENKUlvE_clEvENKUlvE0_clEvEUlfE_EEvS5_RKT_EUlibE_EEviT1_,"axG",@progbits,_ZN2at6native32elementwise_kernel_manual_unrollILi128ELi4EZNS0_22gpu_kernel_impl_nocastIZZZNS0_12_GLOBAL__N_137scaled_modified_bessel_k0_kernel_cudaERNS_18TensorIteratorBaseEENKUlvE_clEvENKUlvE0_clEvEUlfE_EEvS5_RKT_EUlibE_EEviT1_,comdat
	.globl	_ZN2at6native32elementwise_kernel_manual_unrollILi128ELi4EZNS0_22gpu_kernel_impl_nocastIZZZNS0_12_GLOBAL__N_137scaled_modified_bessel_k0_kernel_cudaERNS_18TensorIteratorBaseEENKUlvE_clEvENKUlvE0_clEvEUlfE_EEvS5_RKT_EUlibE_EEviT1_ ; -- Begin function _ZN2at6native32elementwise_kernel_manual_unrollILi128ELi4EZNS0_22gpu_kernel_impl_nocastIZZZNS0_12_GLOBAL__N_137scaled_modified_bessel_k0_kernel_cudaERNS_18TensorIteratorBaseEENKUlvE_clEvENKUlvE0_clEvEUlfE_EEvS5_RKT_EUlibE_EEviT1_
	.p2align	8
	.type	_ZN2at6native32elementwise_kernel_manual_unrollILi128ELi4EZNS0_22gpu_kernel_impl_nocastIZZZNS0_12_GLOBAL__N_137scaled_modified_bessel_k0_kernel_cudaERNS_18TensorIteratorBaseEENKUlvE_clEvENKUlvE0_clEvEUlfE_EEvS5_RKT_EUlibE_EEviT1_,@function
_ZN2at6native32elementwise_kernel_manual_unrollILi128ELi4EZNS0_22gpu_kernel_impl_nocastIZZZNS0_12_GLOBAL__N_137scaled_modified_bessel_k0_kernel_cudaERNS_18TensorIteratorBaseEENKUlvE_clEvENKUlvE0_clEvEUlfE_EEvS5_RKT_EUlibE_EEviT1_: ; @_ZN2at6native32elementwise_kernel_manual_unrollILi128ELi4EZNS0_22gpu_kernel_impl_nocastIZZZNS0_12_GLOBAL__N_137scaled_modified_bessel_k0_kernel_cudaERNS_18TensorIteratorBaseEENKUlvE_clEvENKUlvE0_clEvEUlfE_EEvS5_RKT_EUlibE_EEviT1_
; %bb.0:
	s_load_dword s57, s[4:5], 0x0
	s_load_dword s33, s[4:5], 0x8
	s_or_b32 s4, s4, 8
	v_lshl_or_b32 v4, s6, 9, v0
	v_or_b32_e32 v9, 0x180, v4
	s_waitcnt lgkmcnt(0)
	v_cmp_le_i32_e32 vcc, s57, v9
	s_add_i32 s56, s33, -1
	s_cmp_gt_u32 s56, 1
	s_cselect_b64 s[6:7], -1, 0
	s_and_saveexec_b64 s[0:1], vcc
	s_xor_b64 s[34:35], exec, s[0:1]
	s_cbranch_execz .LBB19_8
; %bb.1:
	s_load_dwordx4 s[36:39], s[4:5], 0x4
	s_load_dwordx2 s[40:41], s[4:5], 0x14
	s_load_dwordx4 s[28:31], s[4:5], 0xc4
	s_load_dwordx4 s[24:27], s[4:5], 0x148
	s_cmp_lg_u32 s33, 0
	s_cselect_b64 s[46:47], -1, 0
	s_add_u32 s44, s4, 0xc4
	s_addc_u32 s45, s5, 0
	s_min_u32 s58, s56, 15
	s_cmp_gt_u32 s33, 1
	s_cselect_b64 s[42:43], -1, 0
	v_cmp_gt_i32_e32 vcc, s57, v4
	s_and_saveexec_b64 s[48:49], vcc
	s_cbranch_execz .LBB19_16
; %bb.2:
	s_andn2_b64 vcc, exec, s[6:7]
	s_cbranch_vccnz .LBB19_24
; %bb.3:
	s_mov_b32 s50, 0
	s_andn2_b64 vcc, exec, s[46:47]
	v_mov_b32_e32 v2, 0
	v_mov_b32_e32 v0, 0
	s_cbranch_vccnz .LBB19_128
; %bb.4:
	s_add_i32 s59, s58, 1
	s_cmp_eq_u32 s56, 2
	s_cbranch_scc1 .LBB19_123
; %bb.5:
	s_and_b32 s50, s59, 28
	s_mov_b32 s51, 0
	v_mov_b32_e32 v0, 0
	s_mov_b64 s[52:53], s[4:5]
	s_mov_b64 s[54:55], s[44:45]
	v_mov_b32_e32 v3, v4
	v_mov_b32_e32 v2, 0
.LBB19_6:                               ; =>This Inner Loop Header: Depth=1
	s_load_dwordx8 s[16:23], s[52:53], 0x4
	s_load_dwordx4 s[0:3], s[52:53], 0x24
	s_load_dwordx8 s[8:15], s[54:55], 0x0
	s_add_u32 s52, s52, 48
	s_addc_u32 s53, s53, 0
	s_waitcnt lgkmcnt(0)
	v_mul_hi_u32 v1, s17, v3
	v_add_u32_e32 v1, v3, v1
	v_lshrrev_b32_e32 v1, s18, v1
	v_mul_lo_u32 v5, v1, s16
	v_mul_hi_u32 v6, s20, v1
	v_sub_u32_e32 v3, v3, v5
	v_add_u32_e32 v5, v1, v6
	v_lshrrev_b32_e32 v5, s21, v5
	v_mul_lo_u32 v7, v5, s19
	v_mul_hi_u32 v8, s23, v5
	v_sub_u32_e32 v1, v1, v7
	v_add_u32_e32 v7, v5, v8
	v_mul_lo_u32 v6, v3, s9
	v_mul_lo_u32 v3, v3, s8
	;; [unrolled: 1-line block ×4, first 2 shown]
	v_lshrrev_b32_e32 v7, s0, v7
	v_add3_u32 v0, v3, v0, v1
	v_mul_hi_u32 v3, s2, v7
	v_add_u32_e32 v3, v7, v3
	v_lshrrev_b32_e32 v3, s3, v3
	s_add_i32 s51, s51, 4
	v_add3_u32 v1, v6, v2, v8
	v_mul_lo_u32 v2, v7, s22
	v_mul_lo_u32 v6, v3, s1
	s_add_u32 s54, s54, 32
	v_sub_u32_e32 v2, v5, v2
	v_sub_u32_e32 v6, v7, v6
	s_addc_u32 s55, s55, 0
	v_mul_lo_u32 v5, v2, s12
	v_mul_lo_u32 v2, v2, s13
	;; [unrolled: 1-line block ×4, first 2 shown]
	s_cmp_lg_u32 s50, s51
	v_add3_u32 v2, v2, v1, v6
	v_add3_u32 v0, v5, v0, v7
	s_cbranch_scc1 .LBB19_6
; %bb.7:
	v_mov_b32_e32 v1, v2
	s_branch .LBB19_124
.LBB19_8:
	s_andn2_saveexec_b64 s[0:1], s[34:35]
	s_cbranch_execz .LBB19_175
.LBB19_9:
	v_cndmask_b32_e64 v0, 0, 1, s[6:7]
	v_cmp_ne_u32_e64 s[0:1], 1, v0
	s_andn2_b64 vcc, exec, s[6:7]
	s_cbranch_vccnz .LBB19_23
; %bb.10:
	s_mov_b32 s2, 0
	s_cmp_lg_u32 s33, 0
	v_mov_b32_e32 v14, 0
	v_mov_b32_e32 v0, 0
	s_cbranch_scc0 .LBB19_15
; %bb.11:
	s_waitcnt lgkmcnt(0)
	s_min_u32 s30, s56, 15
	s_add_i32 s30, s30, 1
	s_cmp_eq_u32 s56, 2
	s_cbranch_scc1 .LBB19_26
; %bb.12:
	s_add_u32 s6, s4, 0xc4
	s_addc_u32 s7, s5, 0
	s_and_b32 s2, s30, 28
	s_mov_b32 s3, 0
	v_mov_b32_e32 v0, 0
	s_mov_b64 s[28:29], s[4:5]
	v_mov_b32_e32 v2, v4
	v_mov_b32_e32 v14, 0
.LBB19_13:                              ; =>This Inner Loop Header: Depth=1
	s_load_dwordx8 s[16:23], s[28:29], 0x4
	s_load_dwordx4 s[24:27], s[28:29], 0x24
	s_load_dwordx8 s[8:15], s[6:7], 0x0
	s_add_u32 s28, s28, 48
	s_addc_u32 s29, s29, 0
	s_waitcnt lgkmcnt(0)
	v_mul_hi_u32 v1, s17, v2
	v_add_u32_e32 v1, v2, v1
	v_lshrrev_b32_e32 v1, s18, v1
	v_mul_lo_u32 v3, v1, s16
	v_mul_hi_u32 v5, s20, v1
	v_sub_u32_e32 v2, v2, v3
	v_add_u32_e32 v3, v1, v5
	v_lshrrev_b32_e32 v3, s21, v3
	v_mul_lo_u32 v6, v3, s19
	v_mul_hi_u32 v7, s23, v3
	v_sub_u32_e32 v1, v1, v6
	v_add_u32_e32 v6, v3, v7
	v_mul_lo_u32 v5, v2, s9
	v_mul_lo_u32 v2, v2, s8
	;; [unrolled: 1-line block ×4, first 2 shown]
	v_lshrrev_b32_e32 v6, s24, v6
	v_add3_u32 v0, v2, v0, v1
	v_add3_u32 v1, v5, v14, v7
	v_mul_lo_u32 v2, v6, s22
	v_mul_hi_u32 v5, s26, v6
	v_sub_u32_e32 v2, v3, v2
	v_add_u32_e32 v3, v6, v5
	v_mul_lo_u32 v5, v2, s12
	v_mul_lo_u32 v7, v2, s13
	v_lshrrev_b32_e32 v2, s27, v3
	s_add_i32 s3, s3, 4
	v_mul_lo_u32 v3, v2, s25
	s_add_u32 s6, s6, 32
	v_sub_u32_e32 v3, v6, v3
	s_addc_u32 s7, s7, 0
	v_mul_lo_u32 v6, v3, s14
	v_mul_lo_u32 v3, v3, s15
	s_cmp_lg_u32 s2, s3
	v_add3_u32 v14, v7, v1, v3
	v_add3_u32 v0, v5, v0, v6
	s_cbranch_scc1 .LBB19_13
; %bb.14:
	v_mov_b32_e32 v1, v14
	s_and_b32 s8, s30, 3
	s_cmp_eq_u32 s8, 0
	s_cbranch_scc0 .LBB19_27
.LBB19_15:
	s_cbranch_execz .LBB19_30
	s_branch .LBB19_32
.LBB19_16:
	s_or_b64 exec, exec, s[48:49]
	v_cmp_gt_i32_e32 vcc, s57, v4
	s_and_saveexec_b64 s[48:49], vcc
	s_cbranch_execz .LBB19_144
.LBB19_17:
	s_andn2_b64 vcc, exec, s[6:7]
	s_cbranch_vccnz .LBB19_25
; %bb.18:
	s_mov_b32 s50, 0
	s_andn2_b64 vcc, exec, s[46:47]
	v_mov_b32_e32 v2, 0
	v_mov_b32_e32 v0, 0
	s_cbranch_vccnz .LBB19_157
; %bb.19:
	s_add_i32 s59, s58, 1
	s_cmp_eq_u32 s56, 2
	s_cbranch_scc1 .LBB19_152
; %bb.20:
	s_and_b32 s50, s59, 28
	s_mov_b32 s51, 0
	v_mov_b32_e32 v0, 0
	s_mov_b64 s[52:53], s[4:5]
	s_mov_b64 s[54:55], s[44:45]
	v_mov_b32_e32 v3, v4
	v_mov_b32_e32 v2, 0
.LBB19_21:                              ; =>This Inner Loop Header: Depth=1
	s_load_dwordx8 s[16:23], s[52:53], 0x4
	s_load_dwordx4 s[0:3], s[52:53], 0x24
	s_load_dwordx8 s[8:15], s[54:55], 0x0
	s_add_u32 s52, s52, 48
	s_addc_u32 s53, s53, 0
	s_waitcnt lgkmcnt(0)
	v_mul_hi_u32 v1, s17, v3
	v_add_u32_e32 v1, v3, v1
	v_lshrrev_b32_e32 v1, s18, v1
	v_mul_lo_u32 v5, v1, s16
	v_mul_hi_u32 v6, s20, v1
	v_sub_u32_e32 v3, v3, v5
	v_add_u32_e32 v5, v1, v6
	v_lshrrev_b32_e32 v5, s21, v5
	v_mul_lo_u32 v7, v5, s19
	v_mul_hi_u32 v8, s23, v5
	v_sub_u32_e32 v1, v1, v7
	v_add_u32_e32 v7, v5, v8
	v_mul_lo_u32 v6, v3, s9
	v_mul_lo_u32 v3, v3, s8
	;; [unrolled: 1-line block ×4, first 2 shown]
	v_lshrrev_b32_e32 v7, s0, v7
	v_add3_u32 v0, v3, v0, v1
	v_mul_hi_u32 v3, s2, v7
	v_add_u32_e32 v3, v7, v3
	v_lshrrev_b32_e32 v3, s3, v3
	s_add_i32 s51, s51, 4
	v_add3_u32 v1, v6, v2, v8
	v_mul_lo_u32 v2, v7, s22
	v_mul_lo_u32 v6, v3, s1
	s_add_u32 s54, s54, 32
	v_sub_u32_e32 v2, v5, v2
	v_sub_u32_e32 v6, v7, v6
	s_addc_u32 s55, s55, 0
	v_mul_lo_u32 v5, v2, s12
	v_mul_lo_u32 v2, v2, s13
	;; [unrolled: 1-line block ×4, first 2 shown]
	s_cmp_eq_u32 s50, s51
	v_add3_u32 v2, v2, v1, v6
	v_add3_u32 v0, v5, v0, v7
	s_cbranch_scc0 .LBB19_21
; %bb.22:
	v_mov_b32_e32 v1, v2
	s_branch .LBB19_153
.LBB19_23:
                                        ; implicit-def: $vgpr14
                                        ; implicit-def: $vgpr0
	s_branch .LBB19_30
.LBB19_24:
                                        ; implicit-def: $vgpr2
                                        ; implicit-def: $vgpr0
	s_branch .LBB19_129
.LBB19_25:
                                        ; implicit-def: $vgpr2
                                        ; implicit-def: $vgpr0
	s_branch .LBB19_158
.LBB19_26:
	s_mov_b32 s3, s2
	v_pk_mov_b32 v[0:1], s[2:3], s[2:3] op_sel:[0,1]
                                        ; implicit-def: $vgpr14
	v_mov_b32_e32 v2, v4
	s_and_b32 s8, s30, 3
	s_cmp_eq_u32 s8, 0
	s_cbranch_scc1 .LBB19_15
.LBB19_27:
	s_lshl_b32 s3, s2, 3
	s_add_u32 s3, s3, s4
	s_addc_u32 s7, 0, s5
	s_add_u32 s6, s3, 0xc4
	s_addc_u32 s7, s7, 0
	s_mul_i32 s2, s2, 12
	s_add_u32 s2, s4, s2
	s_addc_u32 s3, 0, s5
.LBB19_28:                              ; =>This Inner Loop Header: Depth=1
	s_load_dwordx2 s[10:11], s[2:3], 0x4
	s_load_dword s9, s[2:3], 0xc
	s_load_dwordx2 s[12:13], s[6:7], 0x0
	v_mov_b32_e32 v6, v1
	s_add_u32 s2, s2, 12
	s_waitcnt lgkmcnt(0)
	v_mul_hi_u32 v1, s11, v2
	v_add_u32_e32 v1, v2, v1
	v_lshrrev_b32_e32 v1, s9, v1
	s_addc_u32 s3, s3, 0
	v_mul_lo_u32 v3, v1, s10
	s_add_u32 s6, s6, 8
	v_sub_u32_e32 v3, v2, v3
	s_addc_u32 s7, s7, 0
	s_add_i32 s8, s8, -1
	v_mov_b32_e32 v2, v1
	v_mad_u64_u32 v[6:7], s[10:11], v3, s13, v[6:7]
	v_mad_u64_u32 v[0:1], s[10:11], v3, s12, v[0:1]
	s_cmp_lg_u32 s8, 0
	v_mov_b32_e32 v1, v6
	s_cbranch_scc1 .LBB19_28
; %bb.29:
	v_mov_b32_e32 v14, v1
	s_cbranch_execnz .LBB19_32
.LBB19_30:
	s_load_dwordx4 s[8:11], s[4:5], 0x4
	s_load_dwordx2 s[2:3], s[4:5], 0xc4
	s_cmp_lt_u32 s33, 2
	s_waitcnt lgkmcnt(0)
	v_mul_hi_u32 v0, s9, v4
	v_add_u32_e32 v0, v4, v0
	v_lshrrev_b32_e32 v1, s10, v0
	v_mul_lo_u32 v0, v1, s8
	v_sub_u32_e32 v0, v4, v0
	v_mul_lo_u32 v14, v0, s3
	v_mul_lo_u32 v0, v0, s2
	s_cbranch_scc1 .LBB19_32
; %bb.31:
	s_load_dwordx4 s[8:11], s[4:5], 0x10
	s_load_dwordx2 s[2:3], s[4:5], 0xcc
	s_waitcnt lgkmcnt(0)
	v_mul_hi_u32 v2, s9, v1
	v_add_u32_e32 v2, v1, v2
	v_lshrrev_b32_e32 v2, s10, v2
	v_mul_lo_u32 v2, v2, s8
	v_sub_u32_e32 v2, v1, v2
	v_mad_u64_u32 v[0:1], s[6:7], v2, s2, v[0:1]
	v_mad_u64_u32 v[14:15], s[2:3], v2, s3, v[14:15]
.LBB19_32:
	s_and_b64 vcc, exec, s[0:1]
	v_add_u32_e32 v1, 0x80, v4
	s_cbranch_vccnz .LBB19_39
; %bb.33:
	s_mov_b32 s2, 0
	s_cmp_lg_u32 s33, 0
	v_mov_b32_e32 v12, 0
	v_mov_b32_e32 v2, 0
	s_cbranch_scc0 .LBB19_38
; %bb.34:
	s_waitcnt lgkmcnt(0)
	s_min_u32 s30, s56, 15
	s_add_i32 s30, s30, 1
	s_cmp_eq_u32 s56, 2
	s_cbranch_scc1 .LBB19_40
; %bb.35:
	s_add_u32 s6, s4, 0xc4
	s_addc_u32 s7, s5, 0
	s_and_b32 s2, s30, 28
	s_mov_b32 s3, 0
	v_mov_b32_e32 v2, 0
	s_mov_b64 s[28:29], s[4:5]
	v_mov_b32_e32 v5, v1
	v_mov_b32_e32 v12, 0
.LBB19_36:                              ; =>This Inner Loop Header: Depth=1
	s_load_dwordx8 s[16:23], s[28:29], 0x4
	s_load_dwordx4 s[24:27], s[28:29], 0x24
	s_load_dwordx8 s[8:15], s[6:7], 0x0
	s_add_u32 s28, s28, 48
	s_addc_u32 s29, s29, 0
	s_waitcnt lgkmcnt(0)
	v_mul_hi_u32 v3, s17, v5
	v_add_u32_e32 v3, v5, v3
	v_lshrrev_b32_e32 v3, s18, v3
	v_mul_lo_u32 v6, v3, s16
	v_mul_hi_u32 v7, s20, v3
	v_sub_u32_e32 v5, v5, v6
	v_add_u32_e32 v6, v3, v7
	v_lshrrev_b32_e32 v6, s21, v6
	v_mul_lo_u32 v8, v6, s19
	v_mul_hi_u32 v10, s23, v6
	v_sub_u32_e32 v3, v3, v8
	v_add_u32_e32 v8, v6, v10
	v_mul_lo_u32 v7, v5, s9
	v_mul_lo_u32 v5, v5, s8
	;; [unrolled: 1-line block ×4, first 2 shown]
	v_lshrrev_b32_e32 v8, s24, v8
	v_add3_u32 v2, v5, v2, v3
	v_add3_u32 v3, v7, v12, v10
	v_mul_lo_u32 v5, v8, s22
	v_mul_hi_u32 v7, s26, v8
	v_sub_u32_e32 v5, v6, v5
	v_add_u32_e32 v6, v8, v7
	v_mul_lo_u32 v7, v5, s12
	v_mul_lo_u32 v10, v5, s13
	v_lshrrev_b32_e32 v5, s27, v6
	s_add_i32 s3, s3, 4
	v_mul_lo_u32 v6, v5, s25
	s_add_u32 s6, s6, 32
	v_sub_u32_e32 v6, v8, v6
	s_addc_u32 s7, s7, 0
	v_mul_lo_u32 v8, v6, s14
	v_mul_lo_u32 v6, v6, s15
	s_cmp_lg_u32 s2, s3
	v_add3_u32 v12, v10, v3, v6
	v_add3_u32 v2, v7, v2, v8
	s_cbranch_scc1 .LBB19_36
; %bb.37:
	v_mov_b32_e32 v3, v12
	s_and_b32 s8, s30, 3
	s_cmp_eq_u32 s8, 0
	s_cbranch_scc0 .LBB19_41
.LBB19_38:
	s_cbranch_execz .LBB19_44
	s_branch .LBB19_46
.LBB19_39:
                                        ; implicit-def: $vgpr12
                                        ; implicit-def: $vgpr2
	s_branch .LBB19_44
.LBB19_40:
	s_mov_b32 s3, s2
	v_pk_mov_b32 v[2:3], s[2:3], s[2:3] op_sel:[0,1]
                                        ; implicit-def: $vgpr12
	v_mov_b32_e32 v5, v1
	s_and_b32 s8, s30, 3
	s_cmp_eq_u32 s8, 0
	s_cbranch_scc1 .LBB19_38
.LBB19_41:
	s_lshl_b32 s3, s2, 3
	s_add_u32 s3, s3, s4
	s_addc_u32 s7, 0, s5
	s_add_u32 s6, s3, 0xc4
	s_addc_u32 s7, s7, 0
	s_mul_i32 s2, s2, 12
	s_add_u32 s2, s4, s2
	s_addc_u32 s3, 0, s5
.LBB19_42:                              ; =>This Inner Loop Header: Depth=1
	s_load_dwordx2 s[10:11], s[2:3], 0x4
	s_load_dword s9, s[2:3], 0xc
	s_load_dwordx2 s[12:13], s[6:7], 0x0
	v_mov_b32_e32 v6, v3
	s_add_u32 s2, s2, 12
	s_waitcnt lgkmcnt(0)
	v_mul_hi_u32 v3, s11, v5
	v_add_u32_e32 v3, v5, v3
	v_lshrrev_b32_e32 v3, s9, v3
	s_addc_u32 s3, s3, 0
	v_mul_lo_u32 v7, v3, s10
	s_add_u32 s6, s6, 8
	v_sub_u32_e32 v8, v5, v7
	s_addc_u32 s7, s7, 0
	s_add_i32 s8, s8, -1
	v_mov_b32_e32 v5, v3
	v_mad_u64_u32 v[6:7], s[10:11], v8, s13, v[6:7]
	v_mad_u64_u32 v[2:3], s[10:11], v8, s12, v[2:3]
	s_cmp_lg_u32 s8, 0
	v_mov_b32_e32 v3, v6
	s_cbranch_scc1 .LBB19_42
; %bb.43:
	v_mov_b32_e32 v12, v3
	s_cbranch_execnz .LBB19_46
.LBB19_44:
	s_load_dwordx4 s[8:11], s[4:5], 0x4
	s_load_dwordx2 s[2:3], s[4:5], 0xc4
	s_cmp_lt_u32 s33, 2
	s_waitcnt lgkmcnt(0)
	v_mul_hi_u32 v2, s9, v1
	v_add_u32_e32 v2, v1, v2
	v_lshrrev_b32_e32 v3, s10, v2
	v_mul_lo_u32 v2, v3, s8
	v_sub_u32_e32 v1, v1, v2
	v_mul_lo_u32 v12, v1, s3
	v_mul_lo_u32 v2, v1, s2
	s_cbranch_scc1 .LBB19_46
; %bb.45:
	s_load_dwordx4 s[8:11], s[4:5], 0x10
	s_load_dwordx2 s[2:3], s[4:5], 0xcc
	s_waitcnt lgkmcnt(0)
	v_mul_hi_u32 v1, s9, v3
	v_add_u32_e32 v1, v3, v1
	v_lshrrev_b32_e32 v1, s10, v1
	v_mul_lo_u32 v1, v1, s8
	v_sub_u32_e32 v1, v3, v1
	v_mad_u64_u32 v[2:3], s[6:7], v1, s2, v[2:3]
	v_mad_u64_u32 v[12:13], s[2:3], v1, s3, v[12:13]
.LBB19_46:
	s_and_b64 vcc, exec, s[0:1]
	v_add_u32_e32 v1, 0x100, v4
	s_cbranch_vccnz .LBB19_53
; %bb.47:
	s_mov_b32 s2, 0
	s_cmp_lg_u32 s33, 0
	v_mov_b32_e32 v10, 0
	v_mov_b32_e32 v4, 0
	s_cbranch_scc0 .LBB19_52
; %bb.48:
	s_waitcnt lgkmcnt(0)
	s_min_u32 s30, s56, 15
	s_add_i32 s30, s30, 1
	s_cmp_eq_u32 s56, 2
	s_cbranch_scc1 .LBB19_54
; %bb.49:
	s_add_u32 s6, s4, 0xc4
	s_addc_u32 s7, s5, 0
	s_and_b32 s2, s30, 28
	s_mov_b32 s3, 0
	v_mov_b32_e32 v4, 0
	s_mov_b64 s[28:29], s[4:5]
	v_mov_b32_e32 v3, v1
	v_mov_b32_e32 v10, 0
.LBB19_50:                              ; =>This Inner Loop Header: Depth=1
	s_load_dwordx8 s[16:23], s[28:29], 0x4
	s_load_dwordx4 s[24:27], s[28:29], 0x24
	s_load_dwordx8 s[8:15], s[6:7], 0x0
	s_add_u32 s28, s28, 48
	s_addc_u32 s29, s29, 0
	s_waitcnt lgkmcnt(0)
	v_mul_hi_u32 v5, s17, v3
	v_add_u32_e32 v5, v3, v5
	v_lshrrev_b32_e32 v5, s18, v5
	v_mul_lo_u32 v6, v5, s16
	v_mul_hi_u32 v7, s20, v5
	v_sub_u32_e32 v3, v3, v6
	v_add_u32_e32 v6, v5, v7
	v_lshrrev_b32_e32 v6, s21, v6
	v_mul_lo_u32 v8, v6, s19
	v_mul_hi_u32 v11, s23, v6
	v_sub_u32_e32 v5, v5, v8
	v_add_u32_e32 v8, v6, v11
	v_mul_lo_u32 v7, v3, s9
	v_mul_lo_u32 v3, v3, s8
	;; [unrolled: 1-line block ×4, first 2 shown]
	v_lshrrev_b32_e32 v8, s24, v8
	v_add3_u32 v4, v3, v4, v5
	v_add3_u32 v5, v7, v10, v11
	v_mul_lo_u32 v3, v8, s22
	v_mul_hi_u32 v7, s26, v8
	v_sub_u32_e32 v3, v6, v3
	v_add_u32_e32 v6, v8, v7
	v_mul_lo_u32 v7, v3, s12
	v_mul_lo_u32 v10, v3, s13
	v_lshrrev_b32_e32 v3, s27, v6
	s_add_i32 s3, s3, 4
	v_mul_lo_u32 v6, v3, s25
	s_add_u32 s6, s6, 32
	v_sub_u32_e32 v6, v8, v6
	s_addc_u32 s7, s7, 0
	v_mul_lo_u32 v8, v6, s14
	v_mul_lo_u32 v6, v6, s15
	s_cmp_lg_u32 s2, s3
	v_add3_u32 v10, v10, v5, v6
	v_add3_u32 v4, v7, v4, v8
	s_cbranch_scc1 .LBB19_50
; %bb.51:
	v_mov_b32_e32 v5, v10
	s_and_b32 s8, s30, 3
	s_cmp_eq_u32 s8, 0
	s_cbranch_scc0 .LBB19_55
.LBB19_52:
	s_cbranch_execz .LBB19_58
	s_branch .LBB19_60
.LBB19_53:
                                        ; implicit-def: $vgpr10
                                        ; implicit-def: $vgpr4
	s_branch .LBB19_58
.LBB19_54:
	s_mov_b32 s3, s2
	v_pk_mov_b32 v[4:5], s[2:3], s[2:3] op_sel:[0,1]
                                        ; implicit-def: $vgpr10
	v_mov_b32_e32 v3, v1
	s_and_b32 s8, s30, 3
	s_cmp_eq_u32 s8, 0
	s_cbranch_scc1 .LBB19_52
.LBB19_55:
	s_lshl_b32 s3, s2, 3
	s_add_u32 s3, s3, s4
	s_addc_u32 s7, 0, s5
	s_add_u32 s6, s3, 0xc4
	s_addc_u32 s7, s7, 0
	s_mul_i32 s2, s2, 12
	s_add_u32 s2, s4, s2
	s_addc_u32 s3, 0, s5
.LBB19_56:                              ; =>This Inner Loop Header: Depth=1
	s_load_dwordx2 s[10:11], s[2:3], 0x4
	s_load_dword s9, s[2:3], 0xc
	s_load_dwordx2 s[12:13], s[6:7], 0x0
	v_mov_b32_e32 v6, v5
	s_add_u32 s2, s2, 12
	s_waitcnt lgkmcnt(0)
	v_mul_hi_u32 v5, s11, v3
	v_add_u32_e32 v5, v3, v5
	v_lshrrev_b32_e32 v5, s9, v5
	s_addc_u32 s3, s3, 0
	v_mul_lo_u32 v7, v5, s10
	s_add_u32 s6, s6, 8
	v_sub_u32_e32 v8, v3, v7
	s_addc_u32 s7, s7, 0
	s_add_i32 s8, s8, -1
	v_mov_b32_e32 v3, v5
	v_mad_u64_u32 v[6:7], s[10:11], v8, s13, v[6:7]
	v_mad_u64_u32 v[4:5], s[10:11], v8, s12, v[4:5]
	s_cmp_lg_u32 s8, 0
	v_mov_b32_e32 v5, v6
	s_cbranch_scc1 .LBB19_56
; %bb.57:
	v_mov_b32_e32 v10, v5
	s_cbranch_execnz .LBB19_60
.LBB19_58:
	s_load_dwordx4 s[8:11], s[4:5], 0x4
	s_load_dwordx2 s[2:3], s[4:5], 0xc4
	s_cmp_lt_u32 s33, 2
	s_waitcnt lgkmcnt(0)
	v_mul_hi_u32 v3, s9, v1
	v_add_u32_e32 v3, v1, v3
	v_lshrrev_b32_e32 v3, s10, v3
	v_mul_lo_u32 v4, v3, s8
	v_sub_u32_e32 v1, v1, v4
	v_mul_lo_u32 v10, v1, s3
	v_mul_lo_u32 v4, v1, s2
	s_cbranch_scc1 .LBB19_60
; %bb.59:
	s_load_dwordx4 s[8:11], s[4:5], 0x10
	s_load_dwordx2 s[2:3], s[4:5], 0xcc
	s_waitcnt lgkmcnt(0)
	v_mul_hi_u32 v1, s9, v3
	v_add_u32_e32 v1, v3, v1
	v_lshrrev_b32_e32 v1, s10, v1
	v_mul_lo_u32 v1, v1, s8
	v_sub_u32_e32 v1, v3, v1
	v_mad_u64_u32 v[4:5], s[6:7], v1, s2, v[4:5]
	v_mad_u64_u32 v[10:11], s[2:3], v1, s3, v[10:11]
.LBB19_60:
	s_and_b64 vcc, exec, s[0:1]
	s_cbranch_vccnz .LBB19_67
; %bb.61:
	s_mov_b32 s6, 0
	s_cmp_lg_u32 s33, 0
	v_mov_b32_e32 v8, 0
	v_mov_b32_e32 v6, 0
	s_cbranch_scc0 .LBB19_66
; %bb.62:
	s_waitcnt lgkmcnt(0)
	s_min_u32 s28, s56, 15
	s_add_i32 s28, s28, 1
	s_cmp_eq_u32 s56, 2
	s_cbranch_scc1 .LBB19_68
; %bb.63:
	s_add_u32 s24, s4, 0xc4
	s_addc_u32 s25, s5, 0
	s_and_b32 s6, s28, 28
	s_mov_b32 s7, 0
	v_mov_b32_e32 v6, 0
	s_mov_b64 s[26:27], s[4:5]
	v_mov_b32_e32 v1, v9
	v_mov_b32_e32 v8, 0
.LBB19_64:                              ; =>This Inner Loop Header: Depth=1
	s_load_dwordx8 s[16:23], s[26:27], 0x4
	s_load_dwordx4 s[0:3], s[26:27], 0x24
	s_load_dwordx8 s[8:15], s[24:25], 0x0
	s_add_u32 s26, s26, 48
	s_addc_u32 s27, s27, 0
	s_waitcnt lgkmcnt(0)
	v_mul_hi_u32 v3, s17, v1
	v_add_u32_e32 v3, v1, v3
	v_lshrrev_b32_e32 v3, s18, v3
	v_mul_lo_u32 v5, v3, s16
	v_mul_hi_u32 v7, s20, v3
	v_sub_u32_e32 v1, v1, v5
	v_add_u32_e32 v5, v3, v7
	v_lshrrev_b32_e32 v5, s21, v5
	v_mul_lo_u32 v11, v5, s19
	v_mul_hi_u32 v13, s23, v5
	v_sub_u32_e32 v3, v3, v11
	v_add_u32_e32 v11, v5, v13
	v_mul_lo_u32 v7, v1, s9
	v_mul_lo_u32 v1, v1, s8
	;; [unrolled: 1-line block ×4, first 2 shown]
	v_lshrrev_b32_e32 v11, s0, v11
	v_add3_u32 v3, v1, v6, v3
	v_add3_u32 v6, v7, v8, v13
	v_mul_lo_u32 v1, v11, s22
	v_mul_hi_u32 v7, s2, v11
	v_sub_u32_e32 v1, v5, v1
	v_add_u32_e32 v5, v11, v7
	v_mul_lo_u32 v7, v1, s12
	v_mul_lo_u32 v8, v1, s13
	v_lshrrev_b32_e32 v1, s3, v5
	s_add_i32 s7, s7, 4
	v_mul_lo_u32 v5, v1, s1
	s_add_u32 s24, s24, 32
	v_sub_u32_e32 v5, v11, v5
	s_addc_u32 s25, s25, 0
	v_mul_lo_u32 v11, v5, s14
	v_mul_lo_u32 v5, v5, s15
	s_cmp_lg_u32 s6, s7
	v_add3_u32 v8, v8, v6, v5
	v_add3_u32 v6, v7, v3, v11
	s_cbranch_scc1 .LBB19_64
; %bb.65:
	v_mov_b32_e32 v7, v8
	s_and_b32 s7, s28, 3
	s_cmp_eq_u32 s7, 0
	s_cbranch_scc0 .LBB19_69
.LBB19_66:
	s_cbranch_execz .LBB19_72
	s_branch .LBB19_74
.LBB19_67:
                                        ; implicit-def: $vgpr8
                                        ; implicit-def: $vgpr6
	s_branch .LBB19_72
.LBB19_68:
	s_mov_b32 s7, s6
	v_pk_mov_b32 v[6:7], s[6:7], s[6:7] op_sel:[0,1]
                                        ; implicit-def: $vgpr8
	v_mov_b32_e32 v1, v9
	s_and_b32 s7, s28, 3
	s_cmp_eq_u32 s7, 0
	s_cbranch_scc1 .LBB19_66
.LBB19_69:
	s_lshl_b32 s0, s6, 3
	s_add_u32 s0, s0, s4
	s_addc_u32 s1, 0, s5
	s_add_u32 s0, s0, 0xc4
	s_addc_u32 s1, s1, 0
	s_mul_i32 s2, s6, 12
	s_add_u32 s2, s4, s2
	s_addc_u32 s3, 0, s5
.LBB19_70:                              ; =>This Inner Loop Header: Depth=1
	s_load_dwordx2 s[8:9], s[2:3], 0x4
	s_load_dword s6, s[2:3], 0xc
	s_load_dwordx2 s[10:11], s[0:1], 0x0
	s_add_u32 s2, s2, 12
	s_addc_u32 s3, s3, 0
	s_waitcnt lgkmcnt(0)
	v_mul_hi_u32 v3, s9, v1
	v_add_u32_e32 v3, v1, v3
	v_lshrrev_b32_e32 v3, s6, v3
	v_mul_lo_u32 v5, v3, s8
	v_mov_b32_e32 v8, v7
	s_add_u32 s0, s0, 8
	v_sub_u32_e32 v5, v1, v5
	s_addc_u32 s1, s1, 0
	s_add_i32 s7, s7, -1
	v_mad_u64_u32 v[16:17], s[8:9], v5, s11, v[8:9]
	v_mad_u64_u32 v[6:7], s[8:9], v5, s10, v[6:7]
	s_cmp_lg_u32 s7, 0
	v_mov_b32_e32 v1, v3
	v_mov_b32_e32 v7, v16
	s_cbranch_scc1 .LBB19_70
; %bb.71:
	v_mov_b32_e32 v8, v7
	s_cbranch_execnz .LBB19_74
.LBB19_72:
	s_load_dwordx4 s[0:3], s[4:5], 0x4
	s_load_dwordx2 s[6:7], s[4:5], 0xc4
	s_cmp_lt_u32 s33, 2
	s_waitcnt lgkmcnt(0)
	v_mul_hi_u32 v1, s1, v9
	v_add_u32_e32 v1, v9, v1
	v_lshrrev_b32_e32 v1, s2, v1
	v_mul_lo_u32 v3, v1, s0
	v_sub_u32_e32 v3, v9, v3
	v_mul_lo_u32 v8, v3, s7
	v_mul_lo_u32 v6, v3, s6
	s_cbranch_scc1 .LBB19_74
; %bb.73:
	s_load_dwordx4 s[0:3], s[4:5], 0x10
	s_load_dwordx2 s[6:7], s[4:5], 0xcc
	s_waitcnt lgkmcnt(0)
	v_mul_hi_u32 v3, s1, v1
	v_add_u32_e32 v3, v1, v3
	v_lshrrev_b32_e32 v3, s2, v3
	v_mul_lo_u32 v3, v3, s0
	v_sub_u32_e32 v1, v1, v3
	v_mad_u64_u32 v[6:7], s[0:1], v1, s6, v[6:7]
	v_mad_u64_u32 v[8:9], s[0:1], v1, s7, v[8:9]
.LBB19_74:
	s_load_dwordx4 s[4:7], s[4:5], 0x148
	v_mov_b32_e32 v1, 0x7f800000
	v_mov_b32_e32 v3, 0x7f800000
	s_waitcnt lgkmcnt(0)
	global_load_dword v5, v14, s[6:7]
	s_waitcnt vmcnt(0)
	v_cmp_neq_f32_e32 vcc, 0, v5
	s_and_saveexec_b64 s[2:3], vcc
	s_cbranch_execz .LBB19_86
; %bb.75:
	v_cmp_ngt_f32_e32 vcc, 0, v5
	v_mov_b32_e32 v3, 0x7fc00000
	s_and_saveexec_b64 s[8:9], vcc
	s_cbranch_execz .LBB19_85
; %bb.76:
	v_cmp_ge_f32_e32 vcc, 2.0, v5
                                        ; implicit-def: $vgpr3
	s_and_saveexec_b64 s[0:1], vcc
	s_xor_b64 s[10:11], exec, s[0:1]
	s_cbranch_execz .LBB19_82
; %bb.77:
	s_mov_b32 s0, 0x41000000
	v_mul_f32_e32 v3, 0.5, v5
	v_cmp_ge_f32_e32 vcc, s0, v5
                                        ; implicit-def: $vgpr9
                                        ; implicit-def: $vgpr7
	s_and_saveexec_b64 s[0:1], vcc
	s_xor_b64 s[0:1], exec, s[0:1]
	s_cbranch_execz .LBB19_79
; %bb.78:
	v_add_f32_e32 v7, -2.0, v3
	v_mov_b32_e32 v9, 0x24199b15
	v_fmac_f32_e32 v9, 0xa2a2e5b9, v7
	v_mov_b32_e32 v11, 0x22a2e5b9
	v_fmac_f32_e32 v11, v7, v9
	v_add_f32_e32 v11, 0xa58c275c, v11
	v_fma_f32 v9, v7, v11, -v9
	v_add_f32_e32 v9, 0x26f736c5, v9
	v_fma_f32 v11, v7, v9, -v11
	v_add_f32_e32 v11, 0xa8528116, v11
	v_fma_f32 v9, v7, v11, -v9
	v_add_f32_e32 v9, 0x29acda32, v9
	v_fma_f32 v11, v7, v9, -v11
	v_add_f32_e32 v11, 0xab08b263, v11
	v_fma_f32 v9, v7, v11, -v9
	v_add_f32_e32 v9, 0x2c4ff17f, v9
	v_fma_f32 v11, v7, v9, -v11
	v_add_f32_e32 v11, 0xad97e4ac, v11
	v_fma_f32 v9, v7, v11, -v9
	v_add_f32_e32 v9, 0x2ed4c5f6, v9
	v_fma_f32 v11, v7, v9, -v11
	v_add_f32_e32 v11, 0xb00ea7f1, v11
	v_fma_f32 v9, v7, v11, -v9
	v_add_f32_e32 v9, 0x3136c81d, v9
	v_fma_f32 v11, v7, v9, -v11
	v_add_f32_e32 v11, 0xb25f57b4, v11
	v_fma_f32 v9, v7, v11, -v9
	v_add_f32_e32 v9, 0x3381dbb5, v9
	v_fma_f32 v11, v7, v9, -v11
	v_add_f32_e32 v11, 0xb48f631c, v11
	v_fma_f32 v9, v7, v11, -v9
	v_add_f32_e32 v9, 0x3595f925, v9
	v_fma_f32 v11, v7, v9, -v11
	v_add_f32_e32 v11, 0xb694337e, v11
	v_fma_f32 v9, v7, v11, -v9
	v_add_f32_e32 v9, 0x3789fac6, v9
	v_fma_f32 v11, v7, v9, -v11
	v_add_f32_e32 v11, 0xb8715933, v11
	v_fma_f32 v9, v7, v11, -v9
	v_add_f32_e32 v9, 0x3945a8dc, v9
	v_fma_f32 v11, v7, v9, -v11
	v_add_f32_e32 v11, 0xba1717e9, v11
	v_fma_f32 v9, v7, v11, -v9
	v_add_f32_e32 v9, 0x3ad6e3ac, v9
	v_fma_f32 v11, v7, v9, -v11
	v_add_f32_e32 v11, 0xbb8db2f1, v11
	v_fma_f32 v9, v7, v11, -v9
	v_add_f32_e32 v9, 0x3c2ccb10, v9
	v_fma_f32 v11, v7, v9, -v11
	v_add_f32_e32 v11, 0xbcc274f8, v11
	v_fma_f32 v9, v7, v11, -v9
	v_mul_f32_e32 v13, 0x3fb8aa3b, v5
	v_add_f32_e32 v9, 0x3d49f456, v9
	s_mov_b32 s12, 0x3fb8aa3b
	v_rndne_f32_e32 v14, v13
	v_fma_f32 v11, v7, v9, -v11
	v_sub_f32_e32 v15, v13, v14
	v_fma_f32 v13, v5, s12, -v13
	v_add_f32_e32 v11, 0xbdc25b82, v11
	v_fmac_f32_e32 v13, 0x32a5705f, v5
	v_fma_f32 v9, v7, v11, -v9
	v_add_f32_e32 v13, v15, v13
	v_add_f32_e32 v9, 0x3e2fbd64, v9
	v_exp_f32_e32 v13, v13
	v_cvt_i32_f32_e32 v14, v14
	v_fma_f32 v11, v7, v9, -v11
	v_add_f32_e32 v11, 0xbe9bff5e, v11
	v_fma_f32 v7, v7, v11, -v9
	s_mov_b32 s12, 0xc2ce8ed0
	v_add_f32_e32 v11, 0x3f2d4275, v7
	v_ldexp_f32 v7, v13, v14
	v_cmp_ngt_f32_e32 vcc, s12, v5
	s_mov_b32 s12, 0x42b17218
	v_cndmask_b32_e32 v7, 0, v7, vcc
	v_mov_b32_e32 v13, 0x7f800000
	v_cmp_nlt_f32_e32 vcc, s12, v5
	v_sub_f32_e32 v9, v11, v9
	v_cndmask_b32_e32 v7, v13, v7, vcc
	v_mul_f32_e32 v9, 0.5, v9
	v_mul_f32_e32 v9, v7, v9
.LBB19_79:
	s_andn2_saveexec_b64 s[12:13], s[0:1]
	s_cbranch_execz .LBB19_81
; %bb.80:
	s_mov_b32 s14, 0x42000000
	v_div_scale_f32 v7, s[0:1], v5, v5, s14
	v_rcp_f32_e32 v9, v7
	v_div_scale_f32 v11, vcc, s14, v5, s14
	s_mov_b32 s0, 0x3fb8aa3b
	v_fma_f32 v13, -v7, v9, 1.0
	v_fmac_f32_e32 v9, v13, v9
	v_mul_f32_e32 v13, v11, v9
	v_fma_f32 v14, -v7, v13, v11
	v_fmac_f32_e32 v13, v14, v9
	v_fma_f32 v7, -v7, v13, v11
	v_div_fmas_f32 v7, v7, v9, v13
	v_div_fixup_f32 v7, v7, v5, s14
	v_add_f32_e32 v7, -2.0, v7
	v_mov_b32_e32 v9, 0xa2b236d3
	v_fmac_f32_e32 v9, 0xa3056dbb, v7
	v_mov_b32_e32 v11, 0x23056dbb
	v_fmac_f32_e32 v11, v7, v9
	v_add_f32_e32 v11, 0x244df0c1, v11
	v_fma_f32 v9, v7, v11, -v9
	v_add_f32_e32 v9, 0x241f9ee8, v9
	v_fma_f32 v11, v7, v9, -v11
	;; [unrolled: 2-line block ×18, first 2 shown]
	v_mul_f32_e32 v13, 0x3fb8aa3b, v5
	v_add_f32_e32 v11, 0x345c003f, v11
	v_rndne_f32_e32 v14, v13
	v_fma_f32 v9, v7, v11, -v9
	v_sub_f32_e32 v15, v13, v14
	v_fma_f32 v13, v5, s0, -v13
	v_add_f32_e32 v9, 0x3642095e, v9
	v_fmac_f32_e32 v13, 0x32a5705f, v5
	v_fma_f32 v11, v7, v9, -v11
	v_add_f32_e32 v13, v15, v13
	v_add_f32_e32 v11, 0x38907d1c, v11
	v_exp_f32_e32 v13, v13
	v_cvt_i32_f32_e32 v14, v14
	v_fma_f32 v9, v7, v11, -v9
	v_add_f32_e32 v9, 0x3b5ccc65, v9
	v_fma_f32 v7, v7, v9, -v11
	s_mov_b32 s0, 0xc2ce8ed0
	v_add_f32_e32 v9, 0x3f4df315, v7
	v_ldexp_f32 v7, v13, v14
	v_cmp_ngt_f32_e32 vcc, s0, v5
	s_mov_b32 s0, 0x42b17218
	v_cndmask_b32_e32 v7, 0, v7, vcc
	v_mov_b32_e32 v13, 0x7f800000
	v_cmp_nlt_f32_e32 vcc, s0, v5
	s_mov_b32 s0, 0xf800000
	v_cndmask_b32_e32 v7, v13, v7, vcc
	v_mul_f32_e32 v13, 0x4f800000, v5
	v_cmp_gt_f32_e32 vcc, s0, v5
	v_cndmask_b32_e32 v13, v5, v13, vcc
	v_sqrt_f32_e32 v14, v13
	v_sub_f32_e32 v9, v9, v11
	v_mul_f32_e32 v9, 0.5, v9
	v_mul_f32_e32 v9, v7, v9
	v_add_u32_e32 v11, -1, v14
	v_fma_f32 v15, -v11, v14, v13
	v_cmp_ge_f32_e64 s[0:1], 0, v15
	v_add_u32_e32 v15, 1, v14
	v_cndmask_b32_e64 v11, v14, v11, s[0:1]
	v_fma_f32 v14, -v15, v14, v13
	v_cmp_lt_f32_e64 s[0:1], 0, v14
	v_cndmask_b32_e64 v11, v11, v15, s[0:1]
	v_mul_f32_e32 v14, 0x37800000, v11
	v_cndmask_b32_e32 v11, v11, v14, vcc
	v_mov_b32_e32 v14, 0x260
	v_cmp_class_f32_e32 vcc, v13, v14
	v_cndmask_b32_e32 v11, v11, v13, vcc
	v_div_scale_f32 v13, s[0:1], v11, v11, v9
	v_rcp_f32_e32 v14, v13
	v_fma_f32 v15, -v13, v14, 1.0
	v_fmac_f32_e32 v14, v15, v14
	v_div_scale_f32 v15, vcc, v9, v11, v9
	v_mul_f32_e32 v16, v15, v14
	v_fma_f32 v17, -v13, v16, v15
	v_fmac_f32_e32 v16, v17, v14
	v_fma_f32 v13, -v13, v16, v15
	v_div_fmas_f32 v13, v13, v14, v16
	v_div_fixup_f32 v9, v13, v11, v9
.LBB19_81:
	s_or_b64 exec, exec, s[12:13]
	v_fma_f32 v5, v5, v5, -2.0
	v_mov_b32_e32 v11, 0x293fd856
	v_fmac_f32_e32 v11, 0x251e770f, v5
	v_mov_b32_e32 v13, 0xa51e770f
	v_fmac_f32_e32 v13, v5, v11
	v_add_f32_e32 v13, 0x2d3612e2, v13
	v_fma_f32 v11, v5, v13, -v11
	v_add_f32_e32 v11, 0x3102e09b, v11
	v_fma_f32 v13, v5, v11, -v13
	;; [unrolled: 2-line block ×6, first 2 shown]
	v_add_f32_e32 v13, 0x3eb046c4, v13
	s_mov_b32 s0, 0x800000
	v_fma_f32 v5, v5, v13, -v11
	v_mov_b32_e32 v13, 0x4f800000
	v_cmp_gt_f32_e32 vcc, s0, v3
	v_cndmask_b32_e32 v13, 1.0, v13, vcc
	v_mul_f32_e32 v3, v3, v13
	v_log_f32_e32 v3, v3
	v_add_f32_e32 v5, 0xbf090b37, v5
	v_sub_f32_e32 v5, v5, v11
	s_mov_b32 s0, 0x3f317217
	v_mul_f32_e32 v11, 0x3f317217, v3
	v_fma_f32 v13, v3, s0, -v11
	v_fmac_f32_e32 v13, 0x3377d1cf, v3
	s_mov_b32 s0, 0x7f800000
	v_add_f32_e32 v11, v11, v13
	v_cmp_lt_f32_e64 s[0:1], |v3|, s0
	v_cndmask_b32_e64 v3, v3, v11, s[0:1]
	v_mov_b32_e32 v11, 0x41b17218
	v_cndmask_b32_e32 v11, 0, v11, vcc
	v_sub_f32_e32 v3, v3, v11
	v_mul_f32_e32 v3, v3, v9
	v_fma_f32 v3, v5, 0.5, -v3
	v_mul_f32_e32 v3, v7, v3
                                        ; implicit-def: $vgpr5
.LBB19_82:
	s_andn2_saveexec_b64 s[10:11], s[10:11]
	s_cbranch_execz .LBB19_84
; %bb.83:
	s_mov_b32 s12, 0x41000000
	v_div_scale_f32 v3, s[0:1], v5, v5, s12
	v_rcp_f32_e32 v7, v3
	v_div_scale_f32 v9, vcc, s12, v5, s12
	s_mov_b32 s0, 0xf800000
	v_fma_f32 v11, -v3, v7, 1.0
	v_fmac_f32_e32 v7, v11, v7
	v_mul_f32_e32 v11, v9, v7
	v_fma_f32 v13, -v3, v11, v9
	v_fmac_f32_e32 v11, v13, v7
	v_fma_f32 v3, -v3, v11, v9
	v_div_fmas_f32 v3, v3, v7, v11
	v_div_fixup_f32 v3, v3, v5, s12
	v_add_f32_e32 v3, -2.0, v3
	v_mov_b32_e32 v7, 0xa397f665
	v_fmac_f32_e32 v7, 0x22c38d2e, v3
	v_mov_b32_e32 v9, 0xa2c38d2e
	v_fmac_f32_e32 v9, v3, v7
	v_add_f32_e32 v9, 0x24704972, v9
	v_fma_f32 v7, v3, v9, -v7
	v_add_f32_e32 v7, 0xa5417ca4, v7
	v_fma_f32 v9, v3, v7, -v9
	;; [unrolled: 2-line block ×22, first 2 shown]
	v_mul_f32_e32 v7, 0x4f800000, v5
	v_cmp_gt_f32_e32 vcc, s0, v5
	v_cndmask_b32_e32 v5, v5, v7, vcc
	v_sqrt_f32_e32 v7, v5
	v_add_f32_e32 v3, 0x401c2ded, v3
	v_sub_f32_e32 v3, v3, v9
	v_mul_f32_e32 v3, 0.5, v3
	v_add_u32_e32 v9, -1, v7
	v_fma_f32 v11, -v9, v7, v5
	v_cmp_ge_f32_e64 s[0:1], 0, v11
	v_add_u32_e32 v11, 1, v7
	v_cndmask_b32_e64 v9, v7, v9, s[0:1]
	v_fma_f32 v7, -v11, v7, v5
	v_cmp_lt_f32_e64 s[0:1], 0, v7
	v_cndmask_b32_e64 v7, v9, v11, s[0:1]
	v_mul_f32_e32 v9, 0x37800000, v7
	v_cndmask_b32_e32 v7, v7, v9, vcc
	v_mov_b32_e32 v9, 0x260
	v_cmp_class_f32_e32 vcc, v5, v9
	v_cndmask_b32_e32 v5, v7, v5, vcc
	v_div_scale_f32 v7, s[0:1], v5, v5, v3
	v_rcp_f32_e32 v9, v7
	v_fma_f32 v11, -v7, v9, 1.0
	v_fmac_f32_e32 v9, v11, v9
	v_div_scale_f32 v11, vcc, v3, v5, v3
	v_mul_f32_e32 v13, v11, v9
	v_fma_f32 v14, -v7, v13, v11
	v_fmac_f32_e32 v13, v14, v9
	v_fma_f32 v7, -v7, v13, v11
	v_div_fmas_f32 v7, v7, v9, v13
	v_div_fixup_f32 v3, v7, v5, v3
.LBB19_84:
	s_or_b64 exec, exec, s[10:11]
.LBB19_85:
	s_or_b64 exec, exec, s[8:9]
.LBB19_86:
	s_or_b64 exec, exec, s[2:3]
	global_load_dword v5, v12, s[6:7]
	s_waitcnt vmcnt(0)
	v_cmp_neq_f32_e32 vcc, 0, v5
	s_and_saveexec_b64 s[2:3], vcc
	s_cbranch_execz .LBB19_98
; %bb.87:
	v_cmp_ngt_f32_e32 vcc, 0, v5
	v_mov_b32_e32 v1, 0x7fc00000
	s_and_saveexec_b64 s[8:9], vcc
	s_cbranch_execz .LBB19_97
; %bb.88:
	v_cmp_ge_f32_e32 vcc, 2.0, v5
                                        ; implicit-def: $vgpr1
	s_and_saveexec_b64 s[0:1], vcc
	s_xor_b64 s[10:11], exec, s[0:1]
	s_cbranch_execz .LBB19_94
; %bb.89:
	s_mov_b32 s0, 0x41000000
	v_mul_f32_e32 v1, 0.5, v5
	v_cmp_ge_f32_e32 vcc, s0, v5
                                        ; implicit-def: $vgpr9
                                        ; implicit-def: $vgpr7
	s_and_saveexec_b64 s[0:1], vcc
	s_xor_b64 s[0:1], exec, s[0:1]
	s_cbranch_execz .LBB19_91
; %bb.90:
	v_add_f32_e32 v7, -2.0, v1
	v_mov_b32_e32 v9, 0x24199b15
	v_fmac_f32_e32 v9, 0xa2a2e5b9, v7
	v_mov_b32_e32 v11, 0x22a2e5b9
	v_fmac_f32_e32 v11, v7, v9
	v_add_f32_e32 v11, 0xa58c275c, v11
	v_fma_f32 v9, v7, v11, -v9
	v_add_f32_e32 v9, 0x26f736c5, v9
	v_fma_f32 v11, v7, v9, -v11
	;; [unrolled: 2-line block ×23, first 2 shown]
	v_mul_f32_e32 v12, 0x3fb8aa3b, v5
	v_add_f32_e32 v9, 0x3d49f456, v9
	s_mov_b32 s12, 0x3fb8aa3b
	v_rndne_f32_e32 v13, v12
	v_fma_f32 v11, v7, v9, -v11
	v_sub_f32_e32 v14, v12, v13
	v_fma_f32 v12, v5, s12, -v12
	v_add_f32_e32 v11, 0xbdc25b82, v11
	v_fmac_f32_e32 v12, 0x32a5705f, v5
	v_fma_f32 v9, v7, v11, -v9
	v_add_f32_e32 v12, v14, v12
	v_add_f32_e32 v9, 0x3e2fbd64, v9
	v_exp_f32_e32 v12, v12
	v_cvt_i32_f32_e32 v13, v13
	v_fma_f32 v11, v7, v9, -v11
	v_add_f32_e32 v11, 0xbe9bff5e, v11
	v_fma_f32 v7, v7, v11, -v9
	s_mov_b32 s12, 0xc2ce8ed0
	v_add_f32_e32 v11, 0x3f2d4275, v7
	v_ldexp_f32 v7, v12, v13
	v_cmp_ngt_f32_e32 vcc, s12, v5
	s_mov_b32 s12, 0x42b17218
	v_cndmask_b32_e32 v7, 0, v7, vcc
	v_mov_b32_e32 v12, 0x7f800000
	v_cmp_nlt_f32_e32 vcc, s12, v5
	v_sub_f32_e32 v9, v11, v9
	v_cndmask_b32_e32 v7, v12, v7, vcc
	v_mul_f32_e32 v9, 0.5, v9
	v_mul_f32_e32 v9, v7, v9
.LBB19_91:
	s_andn2_saveexec_b64 s[12:13], s[0:1]
	s_cbranch_execz .LBB19_93
; %bb.92:
	s_mov_b32 s14, 0x42000000
	v_div_scale_f32 v7, s[0:1], v5, v5, s14
	v_rcp_f32_e32 v9, v7
	v_div_scale_f32 v11, vcc, s14, v5, s14
	s_mov_b32 s0, 0x3fb8aa3b
	v_fma_f32 v12, -v7, v9, 1.0
	v_fmac_f32_e32 v9, v12, v9
	v_mul_f32_e32 v12, v11, v9
	v_fma_f32 v13, -v7, v12, v11
	v_fmac_f32_e32 v12, v13, v9
	v_fma_f32 v7, -v7, v12, v11
	v_div_fmas_f32 v7, v7, v9, v12
	v_div_fixup_f32 v7, v7, v5, s14
	v_add_f32_e32 v7, -2.0, v7
	v_mov_b32_e32 v9, 0xa2b236d3
	v_fmac_f32_e32 v9, 0xa3056dbb, v7
	v_mov_b32_e32 v11, 0x23056dbb
	v_fmac_f32_e32 v11, v7, v9
	v_add_f32_e32 v11, 0x244df0c1, v11
	v_fma_f32 v9, v7, v11, -v9
	v_add_f32_e32 v9, 0x241f9ee8, v9
	v_fma_f32 v11, v7, v9, -v11
	;; [unrolled: 2-line block ×18, first 2 shown]
	v_mul_f32_e32 v12, 0x3fb8aa3b, v5
	v_add_f32_e32 v11, 0x345c003f, v11
	v_rndne_f32_e32 v13, v12
	v_fma_f32 v9, v7, v11, -v9
	v_sub_f32_e32 v14, v12, v13
	v_fma_f32 v12, v5, s0, -v12
	v_add_f32_e32 v9, 0x3642095e, v9
	v_fmac_f32_e32 v12, 0x32a5705f, v5
	v_fma_f32 v11, v7, v9, -v11
	v_add_f32_e32 v12, v14, v12
	v_add_f32_e32 v11, 0x38907d1c, v11
	v_exp_f32_e32 v12, v12
	v_cvt_i32_f32_e32 v13, v13
	v_fma_f32 v9, v7, v11, -v9
	v_add_f32_e32 v9, 0x3b5ccc65, v9
	v_fma_f32 v7, v7, v9, -v11
	s_mov_b32 s0, 0xc2ce8ed0
	v_add_f32_e32 v9, 0x3f4df315, v7
	v_ldexp_f32 v7, v12, v13
	v_cmp_ngt_f32_e32 vcc, s0, v5
	s_mov_b32 s0, 0x42b17218
	v_cndmask_b32_e32 v7, 0, v7, vcc
	v_mov_b32_e32 v12, 0x7f800000
	v_cmp_nlt_f32_e32 vcc, s0, v5
	s_mov_b32 s0, 0xf800000
	v_cndmask_b32_e32 v7, v12, v7, vcc
	v_mul_f32_e32 v12, 0x4f800000, v5
	v_cmp_gt_f32_e32 vcc, s0, v5
	v_cndmask_b32_e32 v12, v5, v12, vcc
	v_sqrt_f32_e32 v13, v12
	v_sub_f32_e32 v9, v9, v11
	v_mul_f32_e32 v9, 0.5, v9
	v_mul_f32_e32 v9, v7, v9
	v_add_u32_e32 v11, -1, v13
	v_fma_f32 v14, -v11, v13, v12
	v_cmp_ge_f32_e64 s[0:1], 0, v14
	v_add_u32_e32 v14, 1, v13
	v_cndmask_b32_e64 v11, v13, v11, s[0:1]
	v_fma_f32 v13, -v14, v13, v12
	v_cmp_lt_f32_e64 s[0:1], 0, v13
	v_cndmask_b32_e64 v11, v11, v14, s[0:1]
	v_mul_f32_e32 v13, 0x37800000, v11
	v_cndmask_b32_e32 v11, v11, v13, vcc
	v_mov_b32_e32 v13, 0x260
	v_cmp_class_f32_e32 vcc, v12, v13
	v_cndmask_b32_e32 v11, v11, v12, vcc
	v_div_scale_f32 v12, s[0:1], v11, v11, v9
	v_rcp_f32_e32 v13, v12
	v_fma_f32 v14, -v12, v13, 1.0
	v_fmac_f32_e32 v13, v14, v13
	v_div_scale_f32 v14, vcc, v9, v11, v9
	v_mul_f32_e32 v15, v14, v13
	v_fma_f32 v16, -v12, v15, v14
	v_fmac_f32_e32 v15, v16, v13
	v_fma_f32 v12, -v12, v15, v14
	v_div_fmas_f32 v12, v12, v13, v15
	v_div_fixup_f32 v9, v12, v11, v9
.LBB19_93:
	s_or_b64 exec, exec, s[12:13]
	v_fma_f32 v5, v5, v5, -2.0
	v_mov_b32_e32 v11, 0x293fd856
	v_fmac_f32_e32 v11, 0x251e770f, v5
	v_mov_b32_e32 v12, 0xa51e770f
	v_fmac_f32_e32 v12, v5, v11
	v_add_f32_e32 v12, 0x2d3612e2, v12
	v_fma_f32 v11, v5, v12, -v11
	v_add_f32_e32 v11, 0x3102e09b, v11
	v_fma_f32 v12, v5, v11, -v12
	;; [unrolled: 2-line block ×6, first 2 shown]
	v_add_f32_e32 v12, 0x3eb046c4, v12
	s_mov_b32 s0, 0x800000
	v_fma_f32 v5, v5, v12, -v11
	v_mov_b32_e32 v12, 0x4f800000
	v_cmp_gt_f32_e32 vcc, s0, v1
	v_cndmask_b32_e32 v12, 1.0, v12, vcc
	v_mul_f32_e32 v1, v1, v12
	v_log_f32_e32 v1, v1
	v_add_f32_e32 v5, 0xbf090b37, v5
	v_sub_f32_e32 v5, v5, v11
	s_mov_b32 s0, 0x3f317217
	v_mul_f32_e32 v11, 0x3f317217, v1
	v_fma_f32 v12, v1, s0, -v11
	v_fmac_f32_e32 v12, 0x3377d1cf, v1
	s_mov_b32 s0, 0x7f800000
	v_add_f32_e32 v11, v11, v12
	v_cmp_lt_f32_e64 s[0:1], |v1|, s0
	v_cndmask_b32_e64 v1, v1, v11, s[0:1]
	v_mov_b32_e32 v11, 0x41b17218
	v_cndmask_b32_e32 v11, 0, v11, vcc
	v_sub_f32_e32 v1, v1, v11
	v_mul_f32_e32 v1, v1, v9
	v_fma_f32 v1, v5, 0.5, -v1
	v_mul_f32_e32 v1, v7, v1
                                        ; implicit-def: $vgpr5
.LBB19_94:
	s_andn2_saveexec_b64 s[10:11], s[10:11]
	s_cbranch_execz .LBB19_96
; %bb.95:
	s_mov_b32 s12, 0x41000000
	v_div_scale_f32 v1, s[0:1], v5, v5, s12
	v_rcp_f32_e32 v7, v1
	v_div_scale_f32 v9, vcc, s12, v5, s12
	s_mov_b32 s0, 0xf800000
	v_fma_f32 v11, -v1, v7, 1.0
	v_fmac_f32_e32 v7, v11, v7
	v_mul_f32_e32 v11, v9, v7
	v_fma_f32 v12, -v1, v11, v9
	v_fmac_f32_e32 v11, v12, v7
	v_fma_f32 v1, -v1, v11, v9
	v_div_fmas_f32 v1, v1, v7, v11
	v_div_fixup_f32 v1, v1, v5, s12
	v_add_f32_e32 v1, -2.0, v1
	v_mov_b32_e32 v7, 0xa397f665
	v_fmac_f32_e32 v7, 0x22c38d2e, v1
	v_mov_b32_e32 v9, 0xa2c38d2e
	v_fmac_f32_e32 v9, v1, v7
	v_add_f32_e32 v9, 0x24704972, v9
	v_fma_f32 v7, v1, v9, -v7
	v_add_f32_e32 v7, 0xa5417ca4, v7
	v_fma_f32 v9, v1, v7, -v9
	;; [unrolled: 2-line block ×22, first 2 shown]
	v_mul_f32_e32 v7, 0x4f800000, v5
	v_cmp_gt_f32_e32 vcc, s0, v5
	v_cndmask_b32_e32 v5, v5, v7, vcc
	v_sqrt_f32_e32 v7, v5
	v_add_f32_e32 v1, 0x401c2ded, v1
	v_sub_f32_e32 v1, v1, v9
	v_mul_f32_e32 v1, 0.5, v1
	v_add_u32_e32 v9, -1, v7
	v_fma_f32 v11, -v9, v7, v5
	v_cmp_ge_f32_e64 s[0:1], 0, v11
	v_add_u32_e32 v11, 1, v7
	v_cndmask_b32_e64 v9, v7, v9, s[0:1]
	v_fma_f32 v7, -v11, v7, v5
	v_cmp_lt_f32_e64 s[0:1], 0, v7
	v_cndmask_b32_e64 v7, v9, v11, s[0:1]
	v_mul_f32_e32 v9, 0x37800000, v7
	v_cndmask_b32_e32 v7, v7, v9, vcc
	v_mov_b32_e32 v9, 0x260
	v_cmp_class_f32_e32 vcc, v5, v9
	v_cndmask_b32_e32 v5, v7, v5, vcc
	v_div_scale_f32 v7, s[0:1], v5, v5, v1
	v_rcp_f32_e32 v9, v7
	v_fma_f32 v11, -v7, v9, 1.0
	v_fmac_f32_e32 v9, v11, v9
	v_div_scale_f32 v11, vcc, v1, v5, v1
	v_mul_f32_e32 v12, v11, v9
	v_fma_f32 v13, -v7, v12, v11
	v_fmac_f32_e32 v12, v13, v9
	v_fma_f32 v7, -v7, v12, v11
	v_div_fmas_f32 v7, v7, v9, v12
	v_div_fixup_f32 v1, v7, v5, v1
.LBB19_96:
	s_or_b64 exec, exec, s[10:11]
.LBB19_97:
	s_or_b64 exec, exec, s[8:9]
.LBB19_98:
	s_or_b64 exec, exec, s[2:3]
	global_load_dword v9, v10, s[6:7]
	v_mov_b32_e32 v5, 0x7f800000
	v_mov_b32_e32 v7, 0x7f800000
	s_waitcnt vmcnt(0)
	v_cmp_neq_f32_e32 vcc, 0, v9
	s_and_saveexec_b64 s[2:3], vcc
	s_cbranch_execz .LBB19_110
; %bb.99:
	v_cmp_ngt_f32_e32 vcc, 0, v9
	v_mov_b32_e32 v7, 0x7fc00000
	s_and_saveexec_b64 s[8:9], vcc
	s_cbranch_execz .LBB19_109
; %bb.100:
	v_cmp_ge_f32_e32 vcc, 2.0, v9
                                        ; implicit-def: $vgpr7
	s_and_saveexec_b64 s[0:1], vcc
	s_xor_b64 s[10:11], exec, s[0:1]
	s_cbranch_execz .LBB19_106
; %bb.101:
	s_mov_b32 s0, 0x41000000
	v_mul_f32_e32 v7, 0.5, v9
	v_cmp_ge_f32_e32 vcc, s0, v9
                                        ; implicit-def: $vgpr11
                                        ; implicit-def: $vgpr10
	s_and_saveexec_b64 s[0:1], vcc
	s_xor_b64 s[0:1], exec, s[0:1]
	s_cbranch_execz .LBB19_103
; %bb.102:
	v_add_f32_e32 v10, -2.0, v7
	v_mov_b32_e32 v11, 0x24199b15
	v_fmac_f32_e32 v11, 0xa2a2e5b9, v10
	v_mov_b32_e32 v12, 0x22a2e5b9
	v_fmac_f32_e32 v12, v10, v11
	v_add_f32_e32 v12, 0xa58c275c, v12
	v_fma_f32 v11, v10, v12, -v11
	v_add_f32_e32 v11, 0x26f736c5, v11
	v_fma_f32 v12, v10, v11, -v12
	;; [unrolled: 2-line block ×23, first 2 shown]
	v_mul_f32_e32 v13, 0x3fb8aa3b, v9
	v_add_f32_e32 v11, 0x3d49f456, v11
	s_mov_b32 s12, 0x3fb8aa3b
	v_rndne_f32_e32 v14, v13
	v_fma_f32 v12, v10, v11, -v12
	v_sub_f32_e32 v15, v13, v14
	v_fma_f32 v13, v9, s12, -v13
	v_add_f32_e32 v12, 0xbdc25b82, v12
	v_fmac_f32_e32 v13, 0x32a5705f, v9
	v_fma_f32 v11, v10, v12, -v11
	v_add_f32_e32 v13, v15, v13
	v_add_f32_e32 v11, 0x3e2fbd64, v11
	v_exp_f32_e32 v13, v13
	v_cvt_i32_f32_e32 v14, v14
	v_fma_f32 v12, v10, v11, -v12
	v_add_f32_e32 v12, 0xbe9bff5e, v12
	v_fma_f32 v10, v10, v12, -v11
	s_mov_b32 s12, 0xc2ce8ed0
	v_add_f32_e32 v12, 0x3f2d4275, v10
	v_ldexp_f32 v10, v13, v14
	v_cmp_ngt_f32_e32 vcc, s12, v9
	s_mov_b32 s12, 0x42b17218
	v_cndmask_b32_e32 v10, 0, v10, vcc
	v_mov_b32_e32 v13, 0x7f800000
	v_cmp_nlt_f32_e32 vcc, s12, v9
	v_sub_f32_e32 v11, v12, v11
	v_cndmask_b32_e32 v10, v13, v10, vcc
	v_mul_f32_e32 v11, 0.5, v11
	v_mul_f32_e32 v11, v10, v11
.LBB19_103:
	s_andn2_saveexec_b64 s[12:13], s[0:1]
	s_cbranch_execz .LBB19_105
; %bb.104:
	s_mov_b32 s14, 0x42000000
	v_div_scale_f32 v10, s[0:1], v9, v9, s14
	v_rcp_f32_e32 v11, v10
	v_div_scale_f32 v12, vcc, s14, v9, s14
	s_mov_b32 s0, 0x3fb8aa3b
	v_fma_f32 v13, -v10, v11, 1.0
	v_fmac_f32_e32 v11, v13, v11
	v_mul_f32_e32 v13, v12, v11
	v_fma_f32 v14, -v10, v13, v12
	v_fmac_f32_e32 v13, v14, v11
	v_fma_f32 v10, -v10, v13, v12
	v_div_fmas_f32 v10, v10, v11, v13
	v_div_fixup_f32 v10, v10, v9, s14
	v_add_f32_e32 v10, -2.0, v10
	v_mov_b32_e32 v11, 0xa2b236d3
	v_fmac_f32_e32 v11, 0xa3056dbb, v10
	v_mov_b32_e32 v12, 0x23056dbb
	v_fmac_f32_e32 v12, v10, v11
	v_add_f32_e32 v12, 0x244df0c1, v12
	v_fma_f32 v11, v10, v12, -v11
	v_add_f32_e32 v11, 0x241f9ee8, v11
	v_fma_f32 v12, v10, v11, -v12
	;; [unrolled: 2-line block ×18, first 2 shown]
	v_mul_f32_e32 v13, 0x3fb8aa3b, v9
	v_add_f32_e32 v12, 0x345c003f, v12
	v_rndne_f32_e32 v14, v13
	v_fma_f32 v11, v10, v12, -v11
	v_sub_f32_e32 v15, v13, v14
	v_fma_f32 v13, v9, s0, -v13
	v_add_f32_e32 v11, 0x3642095e, v11
	v_fmac_f32_e32 v13, 0x32a5705f, v9
	v_fma_f32 v12, v10, v11, -v12
	v_add_f32_e32 v13, v15, v13
	v_add_f32_e32 v12, 0x38907d1c, v12
	v_exp_f32_e32 v13, v13
	v_cvt_i32_f32_e32 v14, v14
	v_fma_f32 v11, v10, v12, -v11
	v_add_f32_e32 v11, 0x3b5ccc65, v11
	v_fma_f32 v10, v10, v11, -v12
	s_mov_b32 s0, 0xc2ce8ed0
	v_add_f32_e32 v11, 0x3f4df315, v10
	v_ldexp_f32 v10, v13, v14
	v_cmp_ngt_f32_e32 vcc, s0, v9
	s_mov_b32 s0, 0x42b17218
	v_cndmask_b32_e32 v10, 0, v10, vcc
	v_mov_b32_e32 v13, 0x7f800000
	v_cmp_nlt_f32_e32 vcc, s0, v9
	s_mov_b32 s0, 0xf800000
	v_cndmask_b32_e32 v10, v13, v10, vcc
	v_mul_f32_e32 v13, 0x4f800000, v9
	v_cmp_gt_f32_e32 vcc, s0, v9
	v_cndmask_b32_e32 v13, v9, v13, vcc
	v_sqrt_f32_e32 v14, v13
	v_sub_f32_e32 v11, v11, v12
	v_mul_f32_e32 v11, 0.5, v11
	v_mul_f32_e32 v11, v10, v11
	v_add_u32_e32 v12, -1, v14
	v_fma_f32 v15, -v12, v14, v13
	v_cmp_ge_f32_e64 s[0:1], 0, v15
	v_add_u32_e32 v15, 1, v14
	v_cndmask_b32_e64 v12, v14, v12, s[0:1]
	v_fma_f32 v14, -v15, v14, v13
	v_cmp_lt_f32_e64 s[0:1], 0, v14
	v_cndmask_b32_e64 v12, v12, v15, s[0:1]
	v_mul_f32_e32 v14, 0x37800000, v12
	v_cndmask_b32_e32 v12, v12, v14, vcc
	v_mov_b32_e32 v14, 0x260
	v_cmp_class_f32_e32 vcc, v13, v14
	v_cndmask_b32_e32 v12, v12, v13, vcc
	v_div_scale_f32 v13, s[0:1], v12, v12, v11
	v_rcp_f32_e32 v14, v13
	v_fma_f32 v15, -v13, v14, 1.0
	v_fmac_f32_e32 v14, v15, v14
	v_div_scale_f32 v15, vcc, v11, v12, v11
	v_mul_f32_e32 v16, v15, v14
	v_fma_f32 v17, -v13, v16, v15
	v_fmac_f32_e32 v16, v17, v14
	v_fma_f32 v13, -v13, v16, v15
	v_div_fmas_f32 v13, v13, v14, v16
	v_div_fixup_f32 v11, v13, v12, v11
.LBB19_105:
	s_or_b64 exec, exec, s[12:13]
	v_fma_f32 v9, v9, v9, -2.0
	v_mov_b32_e32 v12, 0x293fd856
	v_fmac_f32_e32 v12, 0x251e770f, v9
	v_mov_b32_e32 v13, 0xa51e770f
	v_fmac_f32_e32 v13, v9, v12
	v_add_f32_e32 v13, 0x2d3612e2, v13
	v_fma_f32 v12, v9, v13, -v12
	v_add_f32_e32 v12, 0x3102e09b, v12
	v_fma_f32 v13, v9, v12, -v13
	v_add_f32_e32 v13, 0x348815e7, v13
	v_fma_f32 v12, v9, v13, -v12
	v_add_f32_e32 v12, 0x37bfc808, v12
	v_fma_f32 v13, v9, v12, -v13
	v_add_f32_e32 v13, 0x3aa5c174, v13
	v_fma_f32 v12, v9, v13, -v12
	v_add_f32_e32 v12, 0x3d135fb3, v12
	v_fma_f32 v13, v9, v12, -v13
	v_add_f32_e32 v13, 0x3eb046c4, v13
	s_mov_b32 s0, 0x800000
	v_fma_f32 v9, v9, v13, -v12
	v_mov_b32_e32 v13, 0x4f800000
	v_cmp_gt_f32_e32 vcc, s0, v7
	v_cndmask_b32_e32 v13, 1.0, v13, vcc
	v_mul_f32_e32 v7, v7, v13
	v_log_f32_e32 v7, v7
	v_add_f32_e32 v9, 0xbf090b37, v9
	v_sub_f32_e32 v9, v9, v12
	s_mov_b32 s0, 0x3f317217
	v_mul_f32_e32 v12, 0x3f317217, v7
	v_fma_f32 v13, v7, s0, -v12
	v_fmac_f32_e32 v13, 0x3377d1cf, v7
	s_mov_b32 s0, 0x7f800000
	v_add_f32_e32 v12, v12, v13
	v_cmp_lt_f32_e64 s[0:1], |v7|, s0
	v_cndmask_b32_e64 v7, v7, v12, s[0:1]
	v_mov_b32_e32 v12, 0x41b17218
	v_cndmask_b32_e32 v12, 0, v12, vcc
	v_sub_f32_e32 v7, v7, v12
	v_mul_f32_e32 v7, v7, v11
	v_fma_f32 v7, v9, 0.5, -v7
	v_mul_f32_e32 v7, v10, v7
                                        ; implicit-def: $vgpr9
.LBB19_106:
	s_andn2_saveexec_b64 s[10:11], s[10:11]
	s_cbranch_execz .LBB19_108
; %bb.107:
	s_mov_b32 s12, 0x41000000
	v_div_scale_f32 v7, s[0:1], v9, v9, s12
	v_rcp_f32_e32 v10, v7
	v_div_scale_f32 v11, vcc, s12, v9, s12
	s_mov_b32 s0, 0xf800000
	v_fma_f32 v12, -v7, v10, 1.0
	v_fmac_f32_e32 v10, v12, v10
	v_mul_f32_e32 v12, v11, v10
	v_fma_f32 v13, -v7, v12, v11
	v_fmac_f32_e32 v12, v13, v10
	v_fma_f32 v7, -v7, v12, v11
	v_div_fmas_f32 v7, v7, v10, v12
	v_div_fixup_f32 v7, v7, v9, s12
	v_add_f32_e32 v7, -2.0, v7
	v_mov_b32_e32 v10, 0xa397f665
	v_fmac_f32_e32 v10, 0x22c38d2e, v7
	v_mov_b32_e32 v11, 0xa2c38d2e
	v_fmac_f32_e32 v11, v7, v10
	v_add_f32_e32 v11, 0x24704972, v11
	v_fma_f32 v10, v7, v11, -v10
	v_add_f32_e32 v10, 0xa5417ca4, v10
	v_fma_f32 v11, v7, v10, -v11
	;; [unrolled: 2-line block ×22, first 2 shown]
	v_mul_f32_e32 v10, 0x4f800000, v9
	v_cmp_gt_f32_e32 vcc, s0, v9
	v_cndmask_b32_e32 v9, v9, v10, vcc
	v_sqrt_f32_e32 v10, v9
	v_add_f32_e32 v7, 0x401c2ded, v7
	v_sub_f32_e32 v7, v7, v11
	v_mul_f32_e32 v7, 0.5, v7
	v_add_u32_e32 v11, -1, v10
	v_fma_f32 v12, -v11, v10, v9
	v_cmp_ge_f32_e64 s[0:1], 0, v12
	v_add_u32_e32 v12, 1, v10
	v_cndmask_b32_e64 v11, v10, v11, s[0:1]
	v_fma_f32 v10, -v12, v10, v9
	v_cmp_lt_f32_e64 s[0:1], 0, v10
	v_cndmask_b32_e64 v10, v11, v12, s[0:1]
	v_mul_f32_e32 v11, 0x37800000, v10
	v_cndmask_b32_e32 v10, v10, v11, vcc
	v_mov_b32_e32 v11, 0x260
	v_cmp_class_f32_e32 vcc, v9, v11
	v_cndmask_b32_e32 v9, v10, v9, vcc
	v_div_scale_f32 v10, s[0:1], v9, v9, v7
	v_rcp_f32_e32 v11, v10
	v_fma_f32 v12, -v10, v11, 1.0
	v_fmac_f32_e32 v11, v12, v11
	v_div_scale_f32 v12, vcc, v7, v9, v7
	v_mul_f32_e32 v13, v12, v11
	v_fma_f32 v14, -v10, v13, v12
	v_fmac_f32_e32 v13, v14, v11
	v_fma_f32 v10, -v10, v13, v12
	v_div_fmas_f32 v10, v10, v11, v13
	v_div_fixup_f32 v7, v10, v9, v7
.LBB19_108:
	s_or_b64 exec, exec, s[10:11]
.LBB19_109:
	s_or_b64 exec, exec, s[8:9]
.LBB19_110:
	s_or_b64 exec, exec, s[2:3]
	global_load_dword v8, v8, s[6:7]
	s_waitcnt vmcnt(0)
	v_cmp_neq_f32_e32 vcc, 0, v8
	s_and_saveexec_b64 s[2:3], vcc
	s_cbranch_execz .LBB19_122
; %bb.111:
	v_cmp_ngt_f32_e32 vcc, 0, v8
	v_mov_b32_e32 v5, 0x7fc00000
	s_and_saveexec_b64 s[6:7], vcc
	s_cbranch_execz .LBB19_121
; %bb.112:
	v_cmp_ge_f32_e32 vcc, 2.0, v8
                                        ; implicit-def: $vgpr5
	s_and_saveexec_b64 s[0:1], vcc
	s_xor_b64 s[8:9], exec, s[0:1]
	s_cbranch_execz .LBB19_118
; %bb.113:
	s_mov_b32 s0, 0x41000000
	v_mul_f32_e32 v5, 0.5, v8
	v_cmp_ge_f32_e32 vcc, s0, v8
                                        ; implicit-def: $vgpr10
                                        ; implicit-def: $vgpr9
	s_and_saveexec_b64 s[0:1], vcc
	s_xor_b64 s[0:1], exec, s[0:1]
	s_cbranch_execz .LBB19_115
; %bb.114:
	v_add_f32_e32 v9, -2.0, v5
	v_mov_b32_e32 v10, 0x24199b15
	v_fmac_f32_e32 v10, 0xa2a2e5b9, v9
	v_mov_b32_e32 v11, 0x22a2e5b9
	v_fmac_f32_e32 v11, v9, v10
	v_add_f32_e32 v11, 0xa58c275c, v11
	v_fma_f32 v10, v9, v11, -v10
	v_add_f32_e32 v10, 0x26f736c5, v10
	v_fma_f32 v11, v9, v10, -v11
	;; [unrolled: 2-line block ×23, first 2 shown]
	v_mul_f32_e32 v12, 0x3fb8aa3b, v8
	v_add_f32_e32 v10, 0x3d49f456, v10
	s_mov_b32 s10, 0x3fb8aa3b
	v_rndne_f32_e32 v13, v12
	v_fma_f32 v11, v9, v10, -v11
	v_sub_f32_e32 v14, v12, v13
	v_fma_f32 v12, v8, s10, -v12
	v_add_f32_e32 v11, 0xbdc25b82, v11
	v_fmac_f32_e32 v12, 0x32a5705f, v8
	v_fma_f32 v10, v9, v11, -v10
	v_add_f32_e32 v12, v14, v12
	v_add_f32_e32 v10, 0x3e2fbd64, v10
	v_exp_f32_e32 v12, v12
	v_cvt_i32_f32_e32 v13, v13
	v_fma_f32 v11, v9, v10, -v11
	v_add_f32_e32 v11, 0xbe9bff5e, v11
	v_fma_f32 v9, v9, v11, -v10
	s_mov_b32 s10, 0xc2ce8ed0
	v_add_f32_e32 v11, 0x3f2d4275, v9
	v_ldexp_f32 v9, v12, v13
	v_cmp_ngt_f32_e32 vcc, s10, v8
	s_mov_b32 s10, 0x42b17218
	v_cndmask_b32_e32 v9, 0, v9, vcc
	v_mov_b32_e32 v12, 0x7f800000
	v_cmp_nlt_f32_e32 vcc, s10, v8
	v_sub_f32_e32 v10, v11, v10
	v_cndmask_b32_e32 v9, v12, v9, vcc
	v_mul_f32_e32 v10, 0.5, v10
	v_mul_f32_e32 v10, v9, v10
.LBB19_115:
	s_andn2_saveexec_b64 s[10:11], s[0:1]
	s_cbranch_execz .LBB19_117
; %bb.116:
	s_mov_b32 s12, 0x42000000
	v_div_scale_f32 v9, s[0:1], v8, v8, s12
	v_rcp_f32_e32 v10, v9
	v_div_scale_f32 v11, vcc, s12, v8, s12
	s_mov_b32 s0, 0x3fb8aa3b
	v_fma_f32 v12, -v9, v10, 1.0
	v_fmac_f32_e32 v10, v12, v10
	v_mul_f32_e32 v12, v11, v10
	v_fma_f32 v13, -v9, v12, v11
	v_fmac_f32_e32 v12, v13, v10
	v_fma_f32 v9, -v9, v12, v11
	v_div_fmas_f32 v9, v9, v10, v12
	v_div_fixup_f32 v9, v9, v8, s12
	v_add_f32_e32 v9, -2.0, v9
	v_mov_b32_e32 v10, 0xa2b236d3
	v_fmac_f32_e32 v10, 0xa3056dbb, v9
	v_mov_b32_e32 v11, 0x23056dbb
	v_fmac_f32_e32 v11, v9, v10
	v_add_f32_e32 v11, 0x244df0c1, v11
	v_fma_f32 v10, v9, v11, -v10
	v_add_f32_e32 v10, 0x241f9ee8, v10
	v_fma_f32 v11, v9, v10, -v11
	;; [unrolled: 2-line block ×18, first 2 shown]
	v_mul_f32_e32 v12, 0x3fb8aa3b, v8
	v_add_f32_e32 v11, 0x345c003f, v11
	v_rndne_f32_e32 v13, v12
	v_fma_f32 v10, v9, v11, -v10
	v_sub_f32_e32 v14, v12, v13
	v_fma_f32 v12, v8, s0, -v12
	v_add_f32_e32 v10, 0x3642095e, v10
	v_fmac_f32_e32 v12, 0x32a5705f, v8
	v_fma_f32 v11, v9, v10, -v11
	v_add_f32_e32 v12, v14, v12
	v_add_f32_e32 v11, 0x38907d1c, v11
	v_exp_f32_e32 v12, v12
	v_cvt_i32_f32_e32 v13, v13
	v_fma_f32 v10, v9, v11, -v10
	v_add_f32_e32 v10, 0x3b5ccc65, v10
	v_fma_f32 v9, v9, v10, -v11
	s_mov_b32 s0, 0xc2ce8ed0
	v_add_f32_e32 v10, 0x3f4df315, v9
	v_ldexp_f32 v9, v12, v13
	v_cmp_ngt_f32_e32 vcc, s0, v8
	s_mov_b32 s0, 0x42b17218
	v_cndmask_b32_e32 v9, 0, v9, vcc
	v_mov_b32_e32 v12, 0x7f800000
	v_cmp_nlt_f32_e32 vcc, s0, v8
	s_mov_b32 s0, 0xf800000
	v_cndmask_b32_e32 v9, v12, v9, vcc
	v_mul_f32_e32 v12, 0x4f800000, v8
	v_cmp_gt_f32_e32 vcc, s0, v8
	v_cndmask_b32_e32 v12, v8, v12, vcc
	v_sqrt_f32_e32 v13, v12
	v_sub_f32_e32 v10, v10, v11
	v_mul_f32_e32 v10, 0.5, v10
	v_mul_f32_e32 v10, v9, v10
	v_add_u32_e32 v11, -1, v13
	v_fma_f32 v14, -v11, v13, v12
	v_cmp_ge_f32_e64 s[0:1], 0, v14
	v_add_u32_e32 v14, 1, v13
	v_cndmask_b32_e64 v11, v13, v11, s[0:1]
	v_fma_f32 v13, -v14, v13, v12
	v_cmp_lt_f32_e64 s[0:1], 0, v13
	v_cndmask_b32_e64 v11, v11, v14, s[0:1]
	v_mul_f32_e32 v13, 0x37800000, v11
	v_cndmask_b32_e32 v11, v11, v13, vcc
	v_mov_b32_e32 v13, 0x260
	v_cmp_class_f32_e32 vcc, v12, v13
	v_cndmask_b32_e32 v11, v11, v12, vcc
	v_div_scale_f32 v12, s[0:1], v11, v11, v10
	v_rcp_f32_e32 v13, v12
	v_fma_f32 v14, -v12, v13, 1.0
	v_fmac_f32_e32 v13, v14, v13
	v_div_scale_f32 v14, vcc, v10, v11, v10
	v_mul_f32_e32 v15, v14, v13
	v_fma_f32 v16, -v12, v15, v14
	v_fmac_f32_e32 v15, v16, v13
	v_fma_f32 v12, -v12, v15, v14
	v_div_fmas_f32 v12, v12, v13, v15
	v_div_fixup_f32 v10, v12, v11, v10
.LBB19_117:
	s_or_b64 exec, exec, s[10:11]
	v_fma_f32 v8, v8, v8, -2.0
	v_mov_b32_e32 v11, 0x293fd856
	v_fmac_f32_e32 v11, 0x251e770f, v8
	v_mov_b32_e32 v12, 0xa51e770f
	v_fmac_f32_e32 v12, v8, v11
	v_add_f32_e32 v12, 0x2d3612e2, v12
	v_fma_f32 v11, v8, v12, -v11
	v_add_f32_e32 v11, 0x3102e09b, v11
	v_fma_f32 v12, v8, v11, -v12
	;; [unrolled: 2-line block ×6, first 2 shown]
	v_add_f32_e32 v12, 0x3eb046c4, v12
	s_mov_b32 s0, 0x800000
	v_fma_f32 v8, v8, v12, -v11
	v_mov_b32_e32 v12, 0x4f800000
	v_cmp_gt_f32_e32 vcc, s0, v5
	v_cndmask_b32_e32 v12, 1.0, v12, vcc
	v_mul_f32_e32 v5, v5, v12
	v_log_f32_e32 v5, v5
	v_add_f32_e32 v8, 0xbf090b37, v8
	v_sub_f32_e32 v8, v8, v11
	s_mov_b32 s0, 0x3f317217
	v_mul_f32_e32 v11, 0x3f317217, v5
	v_fma_f32 v12, v5, s0, -v11
	v_fmac_f32_e32 v12, 0x3377d1cf, v5
	s_mov_b32 s0, 0x7f800000
	v_add_f32_e32 v11, v11, v12
	v_cmp_lt_f32_e64 s[0:1], |v5|, s0
	v_cndmask_b32_e64 v5, v5, v11, s[0:1]
	v_mov_b32_e32 v11, 0x41b17218
	v_cndmask_b32_e32 v11, 0, v11, vcc
	v_sub_f32_e32 v5, v5, v11
	v_mul_f32_e32 v5, v5, v10
	v_fma_f32 v5, v8, 0.5, -v5
	v_mul_f32_e32 v5, v9, v5
                                        ; implicit-def: $vgpr8
.LBB19_118:
	s_andn2_saveexec_b64 s[8:9], s[8:9]
	s_cbranch_execz .LBB19_120
; %bb.119:
	s_mov_b32 s10, 0x41000000
	v_div_scale_f32 v5, s[0:1], v8, v8, s10
	v_rcp_f32_e32 v9, v5
	v_div_scale_f32 v10, vcc, s10, v8, s10
	s_mov_b32 s0, 0xf800000
	v_fma_f32 v11, -v5, v9, 1.0
	v_fmac_f32_e32 v9, v11, v9
	v_mul_f32_e32 v11, v10, v9
	v_fma_f32 v12, -v5, v11, v10
	v_fmac_f32_e32 v11, v12, v9
	v_fma_f32 v5, -v5, v11, v10
	v_div_fmas_f32 v5, v5, v9, v11
	v_div_fixup_f32 v5, v5, v8, s10
	v_add_f32_e32 v5, -2.0, v5
	v_mov_b32_e32 v9, 0xa397f665
	v_fmac_f32_e32 v9, 0x22c38d2e, v5
	v_mov_b32_e32 v10, 0xa2c38d2e
	v_fmac_f32_e32 v10, v5, v9
	v_add_f32_e32 v10, 0x24704972, v10
	v_fma_f32 v9, v5, v10, -v9
	v_add_f32_e32 v9, 0xa5417ca4, v9
	v_fma_f32 v10, v5, v9, -v10
	;; [unrolled: 2-line block ×22, first 2 shown]
	v_mul_f32_e32 v9, 0x4f800000, v8
	v_cmp_gt_f32_e32 vcc, s0, v8
	v_cndmask_b32_e32 v8, v8, v9, vcc
	v_sqrt_f32_e32 v9, v8
	v_add_f32_e32 v5, 0x401c2ded, v5
	v_sub_f32_e32 v5, v5, v10
	v_mul_f32_e32 v5, 0.5, v5
	v_add_u32_e32 v10, -1, v9
	v_fma_f32 v11, -v10, v9, v8
	v_cmp_ge_f32_e64 s[0:1], 0, v11
	v_add_u32_e32 v11, 1, v9
	v_cndmask_b32_e64 v10, v9, v10, s[0:1]
	v_fma_f32 v9, -v11, v9, v8
	v_cmp_lt_f32_e64 s[0:1], 0, v9
	v_cndmask_b32_e64 v9, v10, v11, s[0:1]
	v_mul_f32_e32 v10, 0x37800000, v9
	v_cndmask_b32_e32 v9, v9, v10, vcc
	v_mov_b32_e32 v10, 0x260
	v_cmp_class_f32_e32 vcc, v8, v10
	v_cndmask_b32_e32 v8, v9, v8, vcc
	v_div_scale_f32 v9, s[0:1], v8, v8, v5
	v_rcp_f32_e32 v10, v9
	v_fma_f32 v11, -v9, v10, 1.0
	v_fmac_f32_e32 v10, v11, v10
	v_div_scale_f32 v11, vcc, v5, v8, v5
	v_mul_f32_e32 v12, v11, v10
	v_fma_f32 v13, -v9, v12, v11
	v_fmac_f32_e32 v12, v13, v10
	v_fma_f32 v9, -v9, v12, v11
	v_div_fmas_f32 v9, v9, v10, v12
	v_div_fixup_f32 v5, v9, v8, v5
.LBB19_120:
	s_or_b64 exec, exec, s[8:9]
.LBB19_121:
	s_or_b64 exec, exec, s[6:7]
.LBB19_122:
	s_or_b64 exec, exec, s[2:3]
	global_store_dword v0, v3, s[4:5]
	global_store_dword v2, v1, s[4:5]
	;; [unrolled: 1-line block ×4, first 2 shown]
	s_endpgm
.LBB19_123:
	s_mov_b32 s51, s50
	v_pk_mov_b32 v[0:1], s[50:51], s[50:51] op_sel:[0,1]
                                        ; implicit-def: $vgpr2
	v_mov_b32_e32 v3, v4
.LBB19_124:
	s_and_b32 s8, s59, 3
	s_cmp_eq_u32 s8, 0
	s_cbranch_scc1 .LBB19_128
; %bb.125:
	s_lshl_b32 s0, s50, 3
	s_add_u32 s0, s0, s4
	s_addc_u32 s1, s5, 0
	s_add_u32 s0, s0, 0xc4
	s_addc_u32 s1, s1, 0
	s_mul_i32 s2, s50, 12
	s_add_u32 s2, s4, s2
	s_addc_u32 s3, s5, 0
.LBB19_126:                             ; =>This Inner Loop Header: Depth=1
	s_load_dwordx2 s[10:11], s[2:3], 0x4
	s_load_dword s9, s[2:3], 0xc
	s_load_dwordx2 s[12:13], s[0:1], 0x0
	v_mov_b32_e32 v2, v1
	s_add_u32 s2, s2, 12
	s_waitcnt lgkmcnt(0)
	v_mul_hi_u32 v1, s11, v3
	v_add_u32_e32 v1, v3, v1
	v_lshrrev_b32_e32 v1, s9, v1
	s_addc_u32 s3, s3, 0
	v_mul_lo_u32 v5, v1, s10
	s_add_u32 s0, s0, 8
	v_sub_u32_e32 v5, v3, v5
	v_mov_b32_e32 v3, v1
	s_addc_u32 s1, s1, 0
	s_add_i32 s8, s8, -1
	v_mad_u64_u32 v[6:7], s[10:11], v5, s13, v[2:3]
	v_mad_u64_u32 v[0:1], s[10:11], v5, s12, v[0:1]
	s_cmp_lg_u32 s8, 0
	v_mov_b32_e32 v1, v6
	s_cbranch_scc1 .LBB19_126
; %bb.127:
	v_mov_b32_e32 v2, v1
.LBB19_128:
	s_cbranch_execnz .LBB19_131
.LBB19_129:
	s_waitcnt lgkmcnt(0)
	v_mul_hi_u32 v0, s37, v4
	v_add_u32_e32 v0, v4, v0
	v_lshrrev_b32_e32 v1, s38, v0
	v_mul_lo_u32 v0, v1, s36
	v_sub_u32_e32 v0, v4, v0
	v_mul_lo_u32 v2, v0, s29
	s_andn2_b64 vcc, exec, s[42:43]
	v_mul_lo_u32 v0, v0, s28
	s_cbranch_vccnz .LBB19_131
; %bb.130:
	v_mul_hi_u32 v3, s40, v1
	v_add_u32_e32 v3, v1, v3
	v_lshrrev_b32_e32 v3, s41, v3
	v_mul_lo_u32 v3, v3, s39
	v_sub_u32_e32 v3, v1, v3
	v_mad_u64_u32 v[0:1], s[0:1], v3, s30, v[0:1]
	v_mad_u64_u32 v[2:3], s[0:1], v3, s31, v[2:3]
.LBB19_131:
	s_waitcnt lgkmcnt(0)
	global_load_dword v1, v2, s[26:27]
	v_mov_b32_e32 v2, 0x7f800000
	s_waitcnt vmcnt(0)
	v_cmp_neq_f32_e32 vcc, 0, v1
	s_and_saveexec_b64 s[2:3], vcc
	s_cbranch_execz .LBB19_143
; %bb.132:
	v_cmp_ngt_f32_e32 vcc, 0, v1
	v_mov_b32_e32 v2, 0x7fc00000
	s_and_saveexec_b64 s[8:9], vcc
	s_cbranch_execz .LBB19_142
; %bb.133:
	v_cmp_ge_f32_e32 vcc, 2.0, v1
                                        ; implicit-def: $vgpr2
	s_and_saveexec_b64 s[0:1], vcc
	s_xor_b64 s[10:11], exec, s[0:1]
	s_cbranch_execz .LBB19_139
; %bb.134:
	s_mov_b32 s0, 0x41000000
	v_mul_f32_e32 v2, 0.5, v1
	v_cmp_ge_f32_e32 vcc, s0, v1
                                        ; implicit-def: $vgpr5
                                        ; implicit-def: $vgpr3
	s_and_saveexec_b64 s[0:1], vcc
	s_xor_b64 s[0:1], exec, s[0:1]
	s_cbranch_execz .LBB19_136
; %bb.135:
	v_add_f32_e32 v3, -2.0, v2
	v_mov_b32_e32 v5, 0x24199b15
	v_fmac_f32_e32 v5, 0xa2a2e5b9, v3
	v_mov_b32_e32 v6, 0x22a2e5b9
	v_fmac_f32_e32 v6, v3, v5
	v_add_f32_e32 v6, 0xa58c275c, v6
	v_fma_f32 v5, v3, v6, -v5
	v_add_f32_e32 v5, 0x26f736c5, v5
	v_fma_f32 v6, v3, v5, -v6
	;; [unrolled: 2-line block ×23, first 2 shown]
	v_mul_f32_e32 v7, 0x3fb8aa3b, v1
	v_add_f32_e32 v5, 0x3d49f456, v5
	s_mov_b32 s12, 0x3fb8aa3b
	v_rndne_f32_e32 v8, v7
	v_fma_f32 v6, v3, v5, -v6
	v_sub_f32_e32 v9, v7, v8
	v_fma_f32 v7, v1, s12, -v7
	v_add_f32_e32 v6, 0xbdc25b82, v6
	v_fmac_f32_e32 v7, 0x32a5705f, v1
	v_fma_f32 v5, v3, v6, -v5
	v_add_f32_e32 v7, v9, v7
	v_add_f32_e32 v5, 0x3e2fbd64, v5
	v_exp_f32_e32 v7, v7
	v_cvt_i32_f32_e32 v8, v8
	v_fma_f32 v6, v3, v5, -v6
	v_add_f32_e32 v6, 0xbe9bff5e, v6
	v_fma_f32 v3, v3, v6, -v5
	s_mov_b32 s12, 0xc2ce8ed0
	v_add_f32_e32 v6, 0x3f2d4275, v3
	v_ldexp_f32 v3, v7, v8
	v_cmp_ngt_f32_e32 vcc, s12, v1
	s_mov_b32 s12, 0x42b17218
	v_cndmask_b32_e32 v3, 0, v3, vcc
	v_mov_b32_e32 v7, 0x7f800000
	v_cmp_nlt_f32_e32 vcc, s12, v1
	v_sub_f32_e32 v5, v6, v5
	v_cndmask_b32_e32 v3, v7, v3, vcc
	v_mul_f32_e32 v5, 0.5, v5
	v_mul_f32_e32 v5, v3, v5
.LBB19_136:
	s_andn2_saveexec_b64 s[12:13], s[0:1]
	s_cbranch_execz .LBB19_138
; %bb.137:
	s_mov_b32 s14, 0x42000000
	v_div_scale_f32 v3, s[0:1], v1, v1, s14
	v_rcp_f32_e32 v5, v3
	v_div_scale_f32 v6, vcc, s14, v1, s14
	s_mov_b32 s0, 0x3fb8aa3b
	v_fma_f32 v7, -v3, v5, 1.0
	v_fmac_f32_e32 v5, v7, v5
	v_mul_f32_e32 v7, v6, v5
	v_fma_f32 v8, -v3, v7, v6
	v_fmac_f32_e32 v7, v8, v5
	v_fma_f32 v3, -v3, v7, v6
	v_div_fmas_f32 v3, v3, v5, v7
	v_div_fixup_f32 v3, v3, v1, s14
	v_add_f32_e32 v3, -2.0, v3
	v_mov_b32_e32 v5, 0xa2b236d3
	v_fmac_f32_e32 v5, 0xa3056dbb, v3
	v_mov_b32_e32 v6, 0x23056dbb
	v_fmac_f32_e32 v6, v3, v5
	v_add_f32_e32 v6, 0x244df0c1, v6
	v_fma_f32 v5, v3, v6, -v5
	v_add_f32_e32 v5, 0x241f9ee8, v5
	v_fma_f32 v6, v3, v5, -v6
	;; [unrolled: 2-line block ×18, first 2 shown]
	v_mul_f32_e32 v7, 0x3fb8aa3b, v1
	v_add_f32_e32 v6, 0x345c003f, v6
	v_rndne_f32_e32 v8, v7
	v_fma_f32 v5, v3, v6, -v5
	v_sub_f32_e32 v9, v7, v8
	v_fma_f32 v7, v1, s0, -v7
	v_add_f32_e32 v5, 0x3642095e, v5
	v_fmac_f32_e32 v7, 0x32a5705f, v1
	v_fma_f32 v6, v3, v5, -v6
	v_add_f32_e32 v7, v9, v7
	v_add_f32_e32 v6, 0x38907d1c, v6
	v_exp_f32_e32 v7, v7
	v_cvt_i32_f32_e32 v8, v8
	v_fma_f32 v5, v3, v6, -v5
	v_add_f32_e32 v5, 0x3b5ccc65, v5
	v_fma_f32 v3, v3, v5, -v6
	s_mov_b32 s0, 0xc2ce8ed0
	v_add_f32_e32 v5, 0x3f4df315, v3
	v_ldexp_f32 v3, v7, v8
	v_cmp_ngt_f32_e32 vcc, s0, v1
	s_mov_b32 s0, 0x42b17218
	v_cndmask_b32_e32 v3, 0, v3, vcc
	v_mov_b32_e32 v7, 0x7f800000
	v_cmp_nlt_f32_e32 vcc, s0, v1
	s_mov_b32 s0, 0xf800000
	v_cndmask_b32_e32 v3, v7, v3, vcc
	v_mul_f32_e32 v7, 0x4f800000, v1
	v_cmp_gt_f32_e32 vcc, s0, v1
	v_cndmask_b32_e32 v7, v1, v7, vcc
	v_sqrt_f32_e32 v8, v7
	v_sub_f32_e32 v5, v5, v6
	v_mul_f32_e32 v5, 0.5, v5
	v_mul_f32_e32 v5, v3, v5
	v_add_u32_e32 v6, -1, v8
	v_fma_f32 v9, -v6, v8, v7
	v_cmp_ge_f32_e64 s[0:1], 0, v9
	v_add_u32_e32 v9, 1, v8
	v_cndmask_b32_e64 v6, v8, v6, s[0:1]
	v_fma_f32 v8, -v9, v8, v7
	v_cmp_lt_f32_e64 s[0:1], 0, v8
	v_cndmask_b32_e64 v6, v6, v9, s[0:1]
	v_mul_f32_e32 v8, 0x37800000, v6
	v_cndmask_b32_e32 v6, v6, v8, vcc
	v_mov_b32_e32 v8, 0x260
	v_cmp_class_f32_e32 vcc, v7, v8
	v_cndmask_b32_e32 v6, v6, v7, vcc
	v_div_scale_f32 v7, s[0:1], v6, v6, v5
	v_rcp_f32_e32 v8, v7
	v_fma_f32 v9, -v7, v8, 1.0
	v_fmac_f32_e32 v8, v9, v8
	v_div_scale_f32 v9, vcc, v5, v6, v5
	v_mul_f32_e32 v10, v9, v8
	v_fma_f32 v11, -v7, v10, v9
	v_fmac_f32_e32 v10, v11, v8
	v_fma_f32 v7, -v7, v10, v9
	v_div_fmas_f32 v7, v7, v8, v10
	v_div_fixup_f32 v5, v7, v6, v5
.LBB19_138:
	s_or_b64 exec, exec, s[12:13]
	v_fma_f32 v1, v1, v1, -2.0
	v_mov_b32_e32 v6, 0x293fd856
	v_fmac_f32_e32 v6, 0x251e770f, v1
	v_mov_b32_e32 v7, 0xa51e770f
	v_fmac_f32_e32 v7, v1, v6
	v_add_f32_e32 v7, 0x2d3612e2, v7
	v_fma_f32 v6, v1, v7, -v6
	v_add_f32_e32 v6, 0x3102e09b, v6
	v_fma_f32 v7, v1, v6, -v7
	;; [unrolled: 2-line block ×6, first 2 shown]
	v_add_f32_e32 v7, 0x3eb046c4, v7
	s_mov_b32 s0, 0x800000
	v_fma_f32 v1, v1, v7, -v6
	v_mov_b32_e32 v7, 0x4f800000
	v_cmp_gt_f32_e32 vcc, s0, v2
	v_cndmask_b32_e32 v7, 1.0, v7, vcc
	v_mul_f32_e32 v2, v2, v7
	v_log_f32_e32 v2, v2
	v_add_f32_e32 v1, 0xbf090b37, v1
	v_sub_f32_e32 v1, v1, v6
	s_mov_b32 s0, 0x3f317217
	v_mul_f32_e32 v6, 0x3f317217, v2
	v_fma_f32 v7, v2, s0, -v6
	v_fmac_f32_e32 v7, 0x3377d1cf, v2
	s_mov_b32 s0, 0x7f800000
	v_add_f32_e32 v6, v6, v7
	v_cmp_lt_f32_e64 s[0:1], |v2|, s0
	v_cndmask_b32_e64 v2, v2, v6, s[0:1]
	v_mov_b32_e32 v6, 0x41b17218
	v_cndmask_b32_e32 v6, 0, v6, vcc
	v_sub_f32_e32 v2, v2, v6
	v_mul_f32_e32 v2, v2, v5
	v_fma_f32 v1, v1, 0.5, -v2
	v_mul_f32_e32 v2, v3, v1
                                        ; implicit-def: $vgpr1
.LBB19_139:
	s_andn2_saveexec_b64 s[10:11], s[10:11]
	s_cbranch_execz .LBB19_141
; %bb.140:
	s_mov_b32 s12, 0x41000000
	v_div_scale_f32 v2, s[0:1], v1, v1, s12
	v_rcp_f32_e32 v3, v2
	v_div_scale_f32 v5, vcc, s12, v1, s12
	s_mov_b32 s0, 0xf800000
	v_fma_f32 v6, -v2, v3, 1.0
	v_fmac_f32_e32 v3, v6, v3
	v_mul_f32_e32 v6, v5, v3
	v_fma_f32 v7, -v2, v6, v5
	v_fmac_f32_e32 v6, v7, v3
	v_fma_f32 v2, -v2, v6, v5
	v_div_fmas_f32 v2, v2, v3, v6
	v_div_fixup_f32 v2, v2, v1, s12
	v_add_f32_e32 v2, -2.0, v2
	v_mov_b32_e32 v3, 0xa397f665
	v_fmac_f32_e32 v3, 0x22c38d2e, v2
	v_mov_b32_e32 v5, 0xa2c38d2e
	v_fmac_f32_e32 v5, v2, v3
	v_add_f32_e32 v5, 0x24704972, v5
	v_fma_f32 v3, v2, v5, -v3
	v_add_f32_e32 v3, 0xa5417ca4, v3
	v_fma_f32 v5, v2, v3, -v5
	;; [unrolled: 2-line block ×22, first 2 shown]
	v_mul_f32_e32 v3, 0x4f800000, v1
	v_cmp_gt_f32_e32 vcc, s0, v1
	v_cndmask_b32_e32 v1, v1, v3, vcc
	v_sqrt_f32_e32 v3, v1
	v_add_f32_e32 v2, 0x401c2ded, v2
	v_sub_f32_e32 v2, v2, v5
	v_mul_f32_e32 v2, 0.5, v2
	v_add_u32_e32 v5, -1, v3
	v_fma_f32 v6, -v5, v3, v1
	v_cmp_ge_f32_e64 s[0:1], 0, v6
	v_add_u32_e32 v6, 1, v3
	v_cndmask_b32_e64 v5, v3, v5, s[0:1]
	v_fma_f32 v3, -v6, v3, v1
	v_cmp_lt_f32_e64 s[0:1], 0, v3
	v_cndmask_b32_e64 v3, v5, v6, s[0:1]
	v_mul_f32_e32 v5, 0x37800000, v3
	v_cndmask_b32_e32 v3, v3, v5, vcc
	v_mov_b32_e32 v5, 0x260
	v_cmp_class_f32_e32 vcc, v1, v5
	v_cndmask_b32_e32 v1, v3, v1, vcc
	v_div_scale_f32 v3, s[0:1], v1, v1, v2
	v_rcp_f32_e32 v5, v3
	v_fma_f32 v6, -v3, v5, 1.0
	v_fmac_f32_e32 v5, v6, v5
	v_div_scale_f32 v6, vcc, v2, v1, v2
	v_mul_f32_e32 v7, v6, v5
	v_fma_f32 v8, -v3, v7, v6
	v_fmac_f32_e32 v7, v8, v5
	v_fma_f32 v3, -v3, v7, v6
	v_div_fmas_f32 v3, v3, v5, v7
	v_div_fixup_f32 v2, v3, v1, v2
.LBB19_141:
	s_or_b64 exec, exec, s[10:11]
.LBB19_142:
	s_or_b64 exec, exec, s[8:9]
.LBB19_143:
	s_or_b64 exec, exec, s[2:3]
	v_add_u32_e32 v4, 0x80, v4
	global_store_dword v0, v2, s[24:25]
	s_or_b64 exec, exec, s[48:49]
	v_cmp_gt_i32_e32 vcc, s57, v4
	s_and_saveexec_b64 s[48:49], vcc
	s_cbranch_execnz .LBB19_17
.LBB19_144:
	s_or_b64 exec, exec, s[48:49]
	v_cmp_gt_i32_e32 vcc, s57, v4
	s_and_saveexec_b64 s[48:49], vcc
	s_cbranch_execz .LBB19_173
.LBB19_145:
	s_andn2_b64 vcc, exec, s[6:7]
	s_cbranch_vccnz .LBB19_151
; %bb.146:
	s_mov_b32 s50, 0
	s_andn2_b64 vcc, exec, s[46:47]
	v_mov_b32_e32 v2, 0
	v_mov_b32_e32 v0, 0
	s_cbranch_vccnz .LBB19_181
; %bb.147:
	s_add_i32 s59, s58, 1
	s_cmp_eq_u32 s56, 2
	s_cbranch_scc1 .LBB19_176
; %bb.148:
	s_and_b32 s50, s59, 28
	s_mov_b32 s51, 0
	v_mov_b32_e32 v0, 0
	s_mov_b64 s[52:53], s[4:5]
	s_mov_b64 s[54:55], s[44:45]
	v_mov_b32_e32 v3, v4
	v_mov_b32_e32 v2, 0
.LBB19_149:                             ; =>This Inner Loop Header: Depth=1
	s_load_dwordx8 s[16:23], s[52:53], 0x4
	s_load_dwordx4 s[0:3], s[52:53], 0x24
	s_load_dwordx8 s[8:15], s[54:55], 0x0
	s_add_u32 s52, s52, 48
	s_addc_u32 s53, s53, 0
	s_waitcnt lgkmcnt(0)
	v_mul_hi_u32 v1, s17, v3
	v_add_u32_e32 v1, v3, v1
	v_lshrrev_b32_e32 v1, s18, v1
	v_mul_lo_u32 v5, v1, s16
	v_mul_hi_u32 v6, s20, v1
	v_sub_u32_e32 v3, v3, v5
	v_add_u32_e32 v5, v1, v6
	v_lshrrev_b32_e32 v5, s21, v5
	v_mul_lo_u32 v7, v5, s19
	v_mul_hi_u32 v8, s23, v5
	v_sub_u32_e32 v1, v1, v7
	v_add_u32_e32 v7, v5, v8
	v_mul_lo_u32 v6, v3, s9
	v_mul_lo_u32 v3, v3, s8
	;; [unrolled: 1-line block ×4, first 2 shown]
	v_lshrrev_b32_e32 v7, s0, v7
	v_add3_u32 v0, v3, v0, v1
	v_mul_hi_u32 v3, s2, v7
	v_add_u32_e32 v3, v7, v3
	v_lshrrev_b32_e32 v3, s3, v3
	s_add_i32 s51, s51, 4
	v_add3_u32 v1, v6, v2, v8
	v_mul_lo_u32 v2, v7, s22
	v_mul_lo_u32 v6, v3, s1
	s_add_u32 s54, s54, 32
	v_sub_u32_e32 v2, v5, v2
	v_sub_u32_e32 v6, v7, v6
	s_addc_u32 s55, s55, 0
	v_mul_lo_u32 v5, v2, s12
	v_mul_lo_u32 v2, v2, s13
	;; [unrolled: 1-line block ×4, first 2 shown]
	s_cmp_eq_u32 s50, s51
	v_add3_u32 v2, v2, v1, v6
	v_add3_u32 v0, v5, v0, v7
	s_cbranch_scc0 .LBB19_149
; %bb.150:
	v_mov_b32_e32 v1, v2
	s_branch .LBB19_177
.LBB19_151:
                                        ; implicit-def: $vgpr2
                                        ; implicit-def: $vgpr0
	s_branch .LBB19_182
.LBB19_152:
	s_mov_b32 s51, s50
	v_pk_mov_b32 v[0:1], s[50:51], s[50:51] op_sel:[0,1]
                                        ; implicit-def: $vgpr2
	v_mov_b32_e32 v3, v4
.LBB19_153:
	s_and_b32 s8, s59, 3
	s_cmp_eq_u32 s8, 0
	s_cbranch_scc1 .LBB19_157
; %bb.154:
	s_lshl_b32 s0, s50, 3
	s_add_u32 s0, s0, s4
	s_addc_u32 s1, s5, 0
	s_add_u32 s0, s0, 0xc4
	s_addc_u32 s1, s1, 0
	s_mul_i32 s2, s50, 12
	s_add_u32 s2, s4, s2
	s_addc_u32 s3, s5, 0
.LBB19_155:                             ; =>This Inner Loop Header: Depth=1
	s_load_dwordx2 s[10:11], s[2:3], 0x4
	s_load_dword s9, s[2:3], 0xc
	s_load_dwordx2 s[12:13], s[0:1], 0x0
	v_mov_b32_e32 v2, v1
	s_add_u32 s2, s2, 12
	s_waitcnt lgkmcnt(0)
	v_mul_hi_u32 v1, s11, v3
	v_add_u32_e32 v1, v3, v1
	v_lshrrev_b32_e32 v1, s9, v1
	s_addc_u32 s3, s3, 0
	v_mul_lo_u32 v5, v1, s10
	s_add_u32 s0, s0, 8
	v_sub_u32_e32 v5, v3, v5
	v_mov_b32_e32 v3, v1
	s_addc_u32 s1, s1, 0
	s_add_i32 s8, s8, -1
	v_mad_u64_u32 v[6:7], s[10:11], v5, s13, v[2:3]
	v_mad_u64_u32 v[0:1], s[10:11], v5, s12, v[0:1]
	s_cmp_lg_u32 s8, 0
	v_mov_b32_e32 v1, v6
	s_cbranch_scc1 .LBB19_155
; %bb.156:
	v_mov_b32_e32 v2, v1
.LBB19_157:
	s_cbranch_execnz .LBB19_160
.LBB19_158:
	s_waitcnt lgkmcnt(0)
	v_mul_hi_u32 v0, s37, v4
	v_add_u32_e32 v0, v4, v0
	v_lshrrev_b32_e32 v1, s38, v0
	v_mul_lo_u32 v0, v1, s36
	v_sub_u32_e32 v0, v4, v0
	v_mul_lo_u32 v2, v0, s29
	s_andn2_b64 vcc, exec, s[42:43]
	v_mul_lo_u32 v0, v0, s28
	s_cbranch_vccnz .LBB19_160
; %bb.159:
	v_mul_hi_u32 v3, s40, v1
	v_add_u32_e32 v3, v1, v3
	v_lshrrev_b32_e32 v3, s41, v3
	v_mul_lo_u32 v3, v3, s39
	v_sub_u32_e32 v3, v1, v3
	v_mad_u64_u32 v[0:1], s[0:1], v3, s30, v[0:1]
	v_mad_u64_u32 v[2:3], s[0:1], v3, s31, v[2:3]
.LBB19_160:
	s_waitcnt lgkmcnt(0)
	global_load_dword v1, v2, s[26:27]
	v_mov_b32_e32 v2, 0x7f800000
	s_waitcnt vmcnt(0)
	v_cmp_neq_f32_e32 vcc, 0, v1
	s_and_saveexec_b64 s[2:3], vcc
	s_cbranch_execz .LBB19_172
; %bb.161:
	v_cmp_ngt_f32_e32 vcc, 0, v1
	v_mov_b32_e32 v2, 0x7fc00000
	s_and_saveexec_b64 s[8:9], vcc
	s_cbranch_execz .LBB19_171
; %bb.162:
	v_cmp_ge_f32_e32 vcc, 2.0, v1
                                        ; implicit-def: $vgpr2
	s_and_saveexec_b64 s[0:1], vcc
	s_xor_b64 s[10:11], exec, s[0:1]
	s_cbranch_execz .LBB19_168
; %bb.163:
	s_mov_b32 s0, 0x41000000
	v_mul_f32_e32 v2, 0.5, v1
	v_cmp_ge_f32_e32 vcc, s0, v1
                                        ; implicit-def: $vgpr5
                                        ; implicit-def: $vgpr3
	s_and_saveexec_b64 s[0:1], vcc
	s_xor_b64 s[0:1], exec, s[0:1]
	s_cbranch_execz .LBB19_165
; %bb.164:
	v_add_f32_e32 v3, -2.0, v2
	v_mov_b32_e32 v5, 0x24199b15
	v_fmac_f32_e32 v5, 0xa2a2e5b9, v3
	v_mov_b32_e32 v6, 0x22a2e5b9
	v_fmac_f32_e32 v6, v3, v5
	v_add_f32_e32 v6, 0xa58c275c, v6
	v_fma_f32 v5, v3, v6, -v5
	v_add_f32_e32 v5, 0x26f736c5, v5
	v_fma_f32 v6, v3, v5, -v6
	;; [unrolled: 2-line block ×23, first 2 shown]
	v_mul_f32_e32 v7, 0x3fb8aa3b, v1
	v_add_f32_e32 v5, 0x3d49f456, v5
	s_mov_b32 s12, 0x3fb8aa3b
	v_rndne_f32_e32 v8, v7
	v_fma_f32 v6, v3, v5, -v6
	v_sub_f32_e32 v9, v7, v8
	v_fma_f32 v7, v1, s12, -v7
	v_add_f32_e32 v6, 0xbdc25b82, v6
	v_fmac_f32_e32 v7, 0x32a5705f, v1
	v_fma_f32 v5, v3, v6, -v5
	v_add_f32_e32 v7, v9, v7
	v_add_f32_e32 v5, 0x3e2fbd64, v5
	v_exp_f32_e32 v7, v7
	v_cvt_i32_f32_e32 v8, v8
	v_fma_f32 v6, v3, v5, -v6
	v_add_f32_e32 v6, 0xbe9bff5e, v6
	v_fma_f32 v3, v3, v6, -v5
	s_mov_b32 s12, 0xc2ce8ed0
	v_add_f32_e32 v6, 0x3f2d4275, v3
	v_ldexp_f32 v3, v7, v8
	v_cmp_ngt_f32_e32 vcc, s12, v1
	s_mov_b32 s12, 0x42b17218
	v_cndmask_b32_e32 v3, 0, v3, vcc
	v_mov_b32_e32 v7, 0x7f800000
	v_cmp_nlt_f32_e32 vcc, s12, v1
	v_sub_f32_e32 v5, v6, v5
	v_cndmask_b32_e32 v3, v7, v3, vcc
	v_mul_f32_e32 v5, 0.5, v5
	v_mul_f32_e32 v5, v3, v5
.LBB19_165:
	s_andn2_saveexec_b64 s[12:13], s[0:1]
	s_cbranch_execz .LBB19_167
; %bb.166:
	s_mov_b32 s14, 0x42000000
	v_div_scale_f32 v3, s[0:1], v1, v1, s14
	v_rcp_f32_e32 v5, v3
	v_div_scale_f32 v6, vcc, s14, v1, s14
	s_mov_b32 s0, 0x3fb8aa3b
	v_fma_f32 v7, -v3, v5, 1.0
	v_fmac_f32_e32 v5, v7, v5
	v_mul_f32_e32 v7, v6, v5
	v_fma_f32 v8, -v3, v7, v6
	v_fmac_f32_e32 v7, v8, v5
	v_fma_f32 v3, -v3, v7, v6
	v_div_fmas_f32 v3, v3, v5, v7
	v_div_fixup_f32 v3, v3, v1, s14
	v_add_f32_e32 v3, -2.0, v3
	v_mov_b32_e32 v5, 0xa2b236d3
	v_fmac_f32_e32 v5, 0xa3056dbb, v3
	v_mov_b32_e32 v6, 0x23056dbb
	v_fmac_f32_e32 v6, v3, v5
	v_add_f32_e32 v6, 0x244df0c1, v6
	v_fma_f32 v5, v3, v6, -v5
	v_add_f32_e32 v5, 0x241f9ee8, v5
	v_fma_f32 v6, v3, v5, -v6
	;; [unrolled: 2-line block ×18, first 2 shown]
	v_mul_f32_e32 v7, 0x3fb8aa3b, v1
	v_add_f32_e32 v6, 0x345c003f, v6
	v_rndne_f32_e32 v8, v7
	v_fma_f32 v5, v3, v6, -v5
	v_sub_f32_e32 v9, v7, v8
	v_fma_f32 v7, v1, s0, -v7
	v_add_f32_e32 v5, 0x3642095e, v5
	v_fmac_f32_e32 v7, 0x32a5705f, v1
	v_fma_f32 v6, v3, v5, -v6
	v_add_f32_e32 v7, v9, v7
	v_add_f32_e32 v6, 0x38907d1c, v6
	v_exp_f32_e32 v7, v7
	v_cvt_i32_f32_e32 v8, v8
	v_fma_f32 v5, v3, v6, -v5
	v_add_f32_e32 v5, 0x3b5ccc65, v5
	v_fma_f32 v3, v3, v5, -v6
	s_mov_b32 s0, 0xc2ce8ed0
	v_add_f32_e32 v5, 0x3f4df315, v3
	v_ldexp_f32 v3, v7, v8
	v_cmp_ngt_f32_e32 vcc, s0, v1
	s_mov_b32 s0, 0x42b17218
	v_cndmask_b32_e32 v3, 0, v3, vcc
	v_mov_b32_e32 v7, 0x7f800000
	v_cmp_nlt_f32_e32 vcc, s0, v1
	s_mov_b32 s0, 0xf800000
	v_cndmask_b32_e32 v3, v7, v3, vcc
	v_mul_f32_e32 v7, 0x4f800000, v1
	v_cmp_gt_f32_e32 vcc, s0, v1
	v_cndmask_b32_e32 v7, v1, v7, vcc
	v_sqrt_f32_e32 v8, v7
	v_sub_f32_e32 v5, v5, v6
	v_mul_f32_e32 v5, 0.5, v5
	v_mul_f32_e32 v5, v3, v5
	v_add_u32_e32 v6, -1, v8
	v_fma_f32 v9, -v6, v8, v7
	v_cmp_ge_f32_e64 s[0:1], 0, v9
	v_add_u32_e32 v9, 1, v8
	v_cndmask_b32_e64 v6, v8, v6, s[0:1]
	v_fma_f32 v8, -v9, v8, v7
	v_cmp_lt_f32_e64 s[0:1], 0, v8
	v_cndmask_b32_e64 v6, v6, v9, s[0:1]
	v_mul_f32_e32 v8, 0x37800000, v6
	v_cndmask_b32_e32 v6, v6, v8, vcc
	v_mov_b32_e32 v8, 0x260
	v_cmp_class_f32_e32 vcc, v7, v8
	v_cndmask_b32_e32 v6, v6, v7, vcc
	v_div_scale_f32 v7, s[0:1], v6, v6, v5
	v_rcp_f32_e32 v8, v7
	v_fma_f32 v9, -v7, v8, 1.0
	v_fmac_f32_e32 v8, v9, v8
	v_div_scale_f32 v9, vcc, v5, v6, v5
	v_mul_f32_e32 v10, v9, v8
	v_fma_f32 v11, -v7, v10, v9
	v_fmac_f32_e32 v10, v11, v8
	v_fma_f32 v7, -v7, v10, v9
	v_div_fmas_f32 v7, v7, v8, v10
	v_div_fixup_f32 v5, v7, v6, v5
.LBB19_167:
	s_or_b64 exec, exec, s[12:13]
	v_fma_f32 v1, v1, v1, -2.0
	v_mov_b32_e32 v6, 0x293fd856
	v_fmac_f32_e32 v6, 0x251e770f, v1
	v_mov_b32_e32 v7, 0xa51e770f
	v_fmac_f32_e32 v7, v1, v6
	v_add_f32_e32 v7, 0x2d3612e2, v7
	v_fma_f32 v6, v1, v7, -v6
	v_add_f32_e32 v6, 0x3102e09b, v6
	v_fma_f32 v7, v1, v6, -v7
	;; [unrolled: 2-line block ×6, first 2 shown]
	v_add_f32_e32 v7, 0x3eb046c4, v7
	s_mov_b32 s0, 0x800000
	v_fma_f32 v1, v1, v7, -v6
	v_mov_b32_e32 v7, 0x4f800000
	v_cmp_gt_f32_e32 vcc, s0, v2
	v_cndmask_b32_e32 v7, 1.0, v7, vcc
	v_mul_f32_e32 v2, v2, v7
	v_log_f32_e32 v2, v2
	v_add_f32_e32 v1, 0xbf090b37, v1
	v_sub_f32_e32 v1, v1, v6
	s_mov_b32 s0, 0x3f317217
	v_mul_f32_e32 v6, 0x3f317217, v2
	v_fma_f32 v7, v2, s0, -v6
	v_fmac_f32_e32 v7, 0x3377d1cf, v2
	s_mov_b32 s0, 0x7f800000
	v_add_f32_e32 v6, v6, v7
	v_cmp_lt_f32_e64 s[0:1], |v2|, s0
	v_cndmask_b32_e64 v2, v2, v6, s[0:1]
	v_mov_b32_e32 v6, 0x41b17218
	v_cndmask_b32_e32 v6, 0, v6, vcc
	v_sub_f32_e32 v2, v2, v6
	v_mul_f32_e32 v2, v2, v5
	v_fma_f32 v1, v1, 0.5, -v2
	v_mul_f32_e32 v2, v3, v1
                                        ; implicit-def: $vgpr1
.LBB19_168:
	s_andn2_saveexec_b64 s[10:11], s[10:11]
	s_cbranch_execz .LBB19_170
; %bb.169:
	s_mov_b32 s12, 0x41000000
	v_div_scale_f32 v2, s[0:1], v1, v1, s12
	v_rcp_f32_e32 v3, v2
	v_div_scale_f32 v5, vcc, s12, v1, s12
	s_mov_b32 s0, 0xf800000
	v_fma_f32 v6, -v2, v3, 1.0
	v_fmac_f32_e32 v3, v6, v3
	v_mul_f32_e32 v6, v5, v3
	v_fma_f32 v7, -v2, v6, v5
	v_fmac_f32_e32 v6, v7, v3
	v_fma_f32 v2, -v2, v6, v5
	v_div_fmas_f32 v2, v2, v3, v6
	v_div_fixup_f32 v2, v2, v1, s12
	v_add_f32_e32 v2, -2.0, v2
	v_mov_b32_e32 v3, 0xa397f665
	v_fmac_f32_e32 v3, 0x22c38d2e, v2
	v_mov_b32_e32 v5, 0xa2c38d2e
	v_fmac_f32_e32 v5, v2, v3
	v_add_f32_e32 v5, 0x24704972, v5
	v_fma_f32 v3, v2, v5, -v3
	v_add_f32_e32 v3, 0xa5417ca4, v3
	v_fma_f32 v5, v2, v3, -v5
	;; [unrolled: 2-line block ×22, first 2 shown]
	v_mul_f32_e32 v3, 0x4f800000, v1
	v_cmp_gt_f32_e32 vcc, s0, v1
	v_cndmask_b32_e32 v1, v1, v3, vcc
	v_sqrt_f32_e32 v3, v1
	v_add_f32_e32 v2, 0x401c2ded, v2
	v_sub_f32_e32 v2, v2, v5
	v_mul_f32_e32 v2, 0.5, v2
	v_add_u32_e32 v5, -1, v3
	v_fma_f32 v6, -v5, v3, v1
	v_cmp_ge_f32_e64 s[0:1], 0, v6
	v_add_u32_e32 v6, 1, v3
	v_cndmask_b32_e64 v5, v3, v5, s[0:1]
	v_fma_f32 v3, -v6, v3, v1
	v_cmp_lt_f32_e64 s[0:1], 0, v3
	v_cndmask_b32_e64 v3, v5, v6, s[0:1]
	v_mul_f32_e32 v5, 0x37800000, v3
	v_cndmask_b32_e32 v3, v3, v5, vcc
	v_mov_b32_e32 v5, 0x260
	v_cmp_class_f32_e32 vcc, v1, v5
	v_cndmask_b32_e32 v1, v3, v1, vcc
	v_div_scale_f32 v3, s[0:1], v1, v1, v2
	v_rcp_f32_e32 v5, v3
	v_fma_f32 v6, -v3, v5, 1.0
	v_fmac_f32_e32 v5, v6, v5
	v_div_scale_f32 v6, vcc, v2, v1, v2
	v_mul_f32_e32 v7, v6, v5
	v_fma_f32 v8, -v3, v7, v6
	v_fmac_f32_e32 v7, v8, v5
	v_fma_f32 v3, -v3, v7, v6
	v_div_fmas_f32 v3, v3, v5, v7
	v_div_fixup_f32 v2, v3, v1, v2
.LBB19_170:
	s_or_b64 exec, exec, s[10:11]
.LBB19_171:
	s_or_b64 exec, exec, s[8:9]
.LBB19_172:
	s_or_b64 exec, exec, s[2:3]
	v_add_u32_e32 v4, 0x80, v4
	global_store_dword v0, v2, s[24:25]
	s_or_b64 exec, exec, s[48:49]
	v_cmp_gt_i32_e32 vcc, s57, v4
	s_and_saveexec_b64 s[48:49], vcc
	s_cbranch_execnz .LBB19_145
.LBB19_173:
	s_or_b64 exec, exec, s[48:49]
	v_cmp_gt_i32_e32 vcc, s57, v4
	s_and_saveexec_b64 s[48:49], vcc
	s_cbranch_execnz .LBB19_197
.LBB19_174:
	s_or_b64 exec, exec, s[48:49]
                                        ; implicit-def: $vgpr9
                                        ; implicit-def: $vgpr4
	s_andn2_saveexec_b64 s[0:1], s[34:35]
	s_cbranch_execnz .LBB19_9
.LBB19_175:
	s_endpgm
.LBB19_176:
	s_mov_b32 s51, s50
	v_pk_mov_b32 v[0:1], s[50:51], s[50:51] op_sel:[0,1]
                                        ; implicit-def: $vgpr2
	v_mov_b32_e32 v3, v4
.LBB19_177:
	s_and_b32 s8, s59, 3
	s_cmp_eq_u32 s8, 0
	s_cbranch_scc1 .LBB19_181
; %bb.178:
	s_lshl_b32 s0, s50, 3
	s_add_u32 s0, s0, s4
	s_addc_u32 s1, s5, 0
	s_add_u32 s0, s0, 0xc4
	s_addc_u32 s1, s1, 0
	s_mul_i32 s2, s50, 12
	s_add_u32 s2, s4, s2
	s_addc_u32 s3, s5, 0
.LBB19_179:                             ; =>This Inner Loop Header: Depth=1
	s_load_dwordx2 s[10:11], s[2:3], 0x4
	s_load_dword s9, s[2:3], 0xc
	s_load_dwordx2 s[12:13], s[0:1], 0x0
	v_mov_b32_e32 v2, v1
	s_add_u32 s2, s2, 12
	s_waitcnt lgkmcnt(0)
	v_mul_hi_u32 v1, s11, v3
	v_add_u32_e32 v1, v3, v1
	v_lshrrev_b32_e32 v1, s9, v1
	s_addc_u32 s3, s3, 0
	v_mul_lo_u32 v5, v1, s10
	s_add_u32 s0, s0, 8
	v_sub_u32_e32 v5, v3, v5
	v_mov_b32_e32 v3, v1
	s_addc_u32 s1, s1, 0
	s_add_i32 s8, s8, -1
	v_mad_u64_u32 v[6:7], s[10:11], v5, s13, v[2:3]
	v_mad_u64_u32 v[0:1], s[10:11], v5, s12, v[0:1]
	s_cmp_lg_u32 s8, 0
	v_mov_b32_e32 v1, v6
	s_cbranch_scc1 .LBB19_179
; %bb.180:
	v_mov_b32_e32 v2, v1
.LBB19_181:
	s_cbranch_execnz .LBB19_184
.LBB19_182:
	s_waitcnt lgkmcnt(0)
	v_mul_hi_u32 v0, s37, v4
	v_add_u32_e32 v0, v4, v0
	v_lshrrev_b32_e32 v1, s38, v0
	v_mul_lo_u32 v0, v1, s36
	v_sub_u32_e32 v0, v4, v0
	v_mul_lo_u32 v2, v0, s29
	s_andn2_b64 vcc, exec, s[42:43]
	v_mul_lo_u32 v0, v0, s28
	s_cbranch_vccnz .LBB19_184
; %bb.183:
	v_mul_hi_u32 v3, s40, v1
	v_add_u32_e32 v3, v1, v3
	v_lshrrev_b32_e32 v3, s41, v3
	v_mul_lo_u32 v3, v3, s39
	v_sub_u32_e32 v3, v1, v3
	v_mad_u64_u32 v[0:1], s[0:1], v3, s30, v[0:1]
	v_mad_u64_u32 v[2:3], s[0:1], v3, s31, v[2:3]
.LBB19_184:
	s_waitcnt lgkmcnt(0)
	global_load_dword v1, v2, s[26:27]
	v_mov_b32_e32 v2, 0x7f800000
	s_waitcnt vmcnt(0)
	v_cmp_neq_f32_e32 vcc, 0, v1
	s_and_saveexec_b64 s[2:3], vcc
	s_cbranch_execz .LBB19_196
; %bb.185:
	v_cmp_ngt_f32_e32 vcc, 0, v1
	v_mov_b32_e32 v2, 0x7fc00000
	s_and_saveexec_b64 s[8:9], vcc
	s_cbranch_execz .LBB19_195
; %bb.186:
	v_cmp_ge_f32_e32 vcc, 2.0, v1
                                        ; implicit-def: $vgpr2
	s_and_saveexec_b64 s[0:1], vcc
	s_xor_b64 s[10:11], exec, s[0:1]
	s_cbranch_execz .LBB19_192
; %bb.187:
	s_mov_b32 s0, 0x41000000
	v_mul_f32_e32 v2, 0.5, v1
	v_cmp_ge_f32_e32 vcc, s0, v1
                                        ; implicit-def: $vgpr5
                                        ; implicit-def: $vgpr3
	s_and_saveexec_b64 s[0:1], vcc
	s_xor_b64 s[0:1], exec, s[0:1]
	s_cbranch_execz .LBB19_189
; %bb.188:
	v_add_f32_e32 v3, -2.0, v2
	v_mov_b32_e32 v5, 0x24199b15
	v_fmac_f32_e32 v5, 0xa2a2e5b9, v3
	v_mov_b32_e32 v6, 0x22a2e5b9
	v_fmac_f32_e32 v6, v3, v5
	v_add_f32_e32 v6, 0xa58c275c, v6
	v_fma_f32 v5, v3, v6, -v5
	v_add_f32_e32 v5, 0x26f736c5, v5
	v_fma_f32 v6, v3, v5, -v6
	;; [unrolled: 2-line block ×23, first 2 shown]
	v_mul_f32_e32 v7, 0x3fb8aa3b, v1
	v_add_f32_e32 v5, 0x3d49f456, v5
	s_mov_b32 s12, 0x3fb8aa3b
	v_rndne_f32_e32 v8, v7
	v_fma_f32 v6, v3, v5, -v6
	v_sub_f32_e32 v9, v7, v8
	v_fma_f32 v7, v1, s12, -v7
	v_add_f32_e32 v6, 0xbdc25b82, v6
	v_fmac_f32_e32 v7, 0x32a5705f, v1
	v_fma_f32 v5, v3, v6, -v5
	v_add_f32_e32 v7, v9, v7
	v_add_f32_e32 v5, 0x3e2fbd64, v5
	v_exp_f32_e32 v7, v7
	v_cvt_i32_f32_e32 v8, v8
	v_fma_f32 v6, v3, v5, -v6
	v_add_f32_e32 v6, 0xbe9bff5e, v6
	v_fma_f32 v3, v3, v6, -v5
	s_mov_b32 s12, 0xc2ce8ed0
	v_add_f32_e32 v6, 0x3f2d4275, v3
	v_ldexp_f32 v3, v7, v8
	v_cmp_ngt_f32_e32 vcc, s12, v1
	s_mov_b32 s12, 0x42b17218
	v_cndmask_b32_e32 v3, 0, v3, vcc
	v_mov_b32_e32 v7, 0x7f800000
	v_cmp_nlt_f32_e32 vcc, s12, v1
	v_sub_f32_e32 v5, v6, v5
	v_cndmask_b32_e32 v3, v7, v3, vcc
	v_mul_f32_e32 v5, 0.5, v5
	v_mul_f32_e32 v5, v3, v5
.LBB19_189:
	s_andn2_saveexec_b64 s[12:13], s[0:1]
	s_cbranch_execz .LBB19_191
; %bb.190:
	s_mov_b32 s14, 0x42000000
	v_div_scale_f32 v3, s[0:1], v1, v1, s14
	v_rcp_f32_e32 v5, v3
	v_div_scale_f32 v6, vcc, s14, v1, s14
	s_mov_b32 s0, 0x3fb8aa3b
	v_fma_f32 v7, -v3, v5, 1.0
	v_fmac_f32_e32 v5, v7, v5
	v_mul_f32_e32 v7, v6, v5
	v_fma_f32 v8, -v3, v7, v6
	v_fmac_f32_e32 v7, v8, v5
	v_fma_f32 v3, -v3, v7, v6
	v_div_fmas_f32 v3, v3, v5, v7
	v_div_fixup_f32 v3, v3, v1, s14
	v_add_f32_e32 v3, -2.0, v3
	v_mov_b32_e32 v5, 0xa2b236d3
	v_fmac_f32_e32 v5, 0xa3056dbb, v3
	v_mov_b32_e32 v6, 0x23056dbb
	v_fmac_f32_e32 v6, v3, v5
	v_add_f32_e32 v6, 0x244df0c1, v6
	v_fma_f32 v5, v3, v6, -v5
	v_add_f32_e32 v5, 0x241f9ee8, v5
	v_fma_f32 v6, v3, v5, -v6
	;; [unrolled: 2-line block ×18, first 2 shown]
	v_mul_f32_e32 v7, 0x3fb8aa3b, v1
	v_add_f32_e32 v6, 0x345c003f, v6
	v_rndne_f32_e32 v8, v7
	v_fma_f32 v5, v3, v6, -v5
	v_sub_f32_e32 v9, v7, v8
	v_fma_f32 v7, v1, s0, -v7
	v_add_f32_e32 v5, 0x3642095e, v5
	v_fmac_f32_e32 v7, 0x32a5705f, v1
	v_fma_f32 v6, v3, v5, -v6
	v_add_f32_e32 v7, v9, v7
	v_add_f32_e32 v6, 0x38907d1c, v6
	v_exp_f32_e32 v7, v7
	v_cvt_i32_f32_e32 v8, v8
	v_fma_f32 v5, v3, v6, -v5
	v_add_f32_e32 v5, 0x3b5ccc65, v5
	v_fma_f32 v3, v3, v5, -v6
	s_mov_b32 s0, 0xc2ce8ed0
	v_add_f32_e32 v5, 0x3f4df315, v3
	v_ldexp_f32 v3, v7, v8
	v_cmp_ngt_f32_e32 vcc, s0, v1
	s_mov_b32 s0, 0x42b17218
	v_cndmask_b32_e32 v3, 0, v3, vcc
	v_mov_b32_e32 v7, 0x7f800000
	v_cmp_nlt_f32_e32 vcc, s0, v1
	s_mov_b32 s0, 0xf800000
	v_cndmask_b32_e32 v3, v7, v3, vcc
	v_mul_f32_e32 v7, 0x4f800000, v1
	v_cmp_gt_f32_e32 vcc, s0, v1
	v_cndmask_b32_e32 v7, v1, v7, vcc
	v_sqrt_f32_e32 v8, v7
	v_sub_f32_e32 v5, v5, v6
	v_mul_f32_e32 v5, 0.5, v5
	v_mul_f32_e32 v5, v3, v5
	v_add_u32_e32 v6, -1, v8
	v_fma_f32 v9, -v6, v8, v7
	v_cmp_ge_f32_e64 s[0:1], 0, v9
	v_add_u32_e32 v9, 1, v8
	v_cndmask_b32_e64 v6, v8, v6, s[0:1]
	v_fma_f32 v8, -v9, v8, v7
	v_cmp_lt_f32_e64 s[0:1], 0, v8
	v_cndmask_b32_e64 v6, v6, v9, s[0:1]
	v_mul_f32_e32 v8, 0x37800000, v6
	v_cndmask_b32_e32 v6, v6, v8, vcc
	v_mov_b32_e32 v8, 0x260
	v_cmp_class_f32_e32 vcc, v7, v8
	v_cndmask_b32_e32 v6, v6, v7, vcc
	v_div_scale_f32 v7, s[0:1], v6, v6, v5
	v_rcp_f32_e32 v8, v7
	v_fma_f32 v9, -v7, v8, 1.0
	v_fmac_f32_e32 v8, v9, v8
	v_div_scale_f32 v9, vcc, v5, v6, v5
	v_mul_f32_e32 v10, v9, v8
	v_fma_f32 v11, -v7, v10, v9
	v_fmac_f32_e32 v10, v11, v8
	v_fma_f32 v7, -v7, v10, v9
	v_div_fmas_f32 v7, v7, v8, v10
	v_div_fixup_f32 v5, v7, v6, v5
.LBB19_191:
	s_or_b64 exec, exec, s[12:13]
	v_fma_f32 v1, v1, v1, -2.0
	v_mov_b32_e32 v6, 0x293fd856
	v_fmac_f32_e32 v6, 0x251e770f, v1
	v_mov_b32_e32 v7, 0xa51e770f
	v_fmac_f32_e32 v7, v1, v6
	v_add_f32_e32 v7, 0x2d3612e2, v7
	v_fma_f32 v6, v1, v7, -v6
	v_add_f32_e32 v6, 0x3102e09b, v6
	v_fma_f32 v7, v1, v6, -v7
	;; [unrolled: 2-line block ×6, first 2 shown]
	v_add_f32_e32 v7, 0x3eb046c4, v7
	s_mov_b32 s0, 0x800000
	v_fma_f32 v1, v1, v7, -v6
	v_mov_b32_e32 v7, 0x4f800000
	v_cmp_gt_f32_e32 vcc, s0, v2
	v_cndmask_b32_e32 v7, 1.0, v7, vcc
	v_mul_f32_e32 v2, v2, v7
	v_log_f32_e32 v2, v2
	v_add_f32_e32 v1, 0xbf090b37, v1
	v_sub_f32_e32 v1, v1, v6
	s_mov_b32 s0, 0x3f317217
	v_mul_f32_e32 v6, 0x3f317217, v2
	v_fma_f32 v7, v2, s0, -v6
	v_fmac_f32_e32 v7, 0x3377d1cf, v2
	s_mov_b32 s0, 0x7f800000
	v_add_f32_e32 v6, v6, v7
	v_cmp_lt_f32_e64 s[0:1], |v2|, s0
	v_cndmask_b32_e64 v2, v2, v6, s[0:1]
	v_mov_b32_e32 v6, 0x41b17218
	v_cndmask_b32_e32 v6, 0, v6, vcc
	v_sub_f32_e32 v2, v2, v6
	v_mul_f32_e32 v2, v2, v5
	v_fma_f32 v1, v1, 0.5, -v2
	v_mul_f32_e32 v2, v3, v1
                                        ; implicit-def: $vgpr1
.LBB19_192:
	s_andn2_saveexec_b64 s[10:11], s[10:11]
	s_cbranch_execz .LBB19_194
; %bb.193:
	s_mov_b32 s12, 0x41000000
	v_div_scale_f32 v2, s[0:1], v1, v1, s12
	v_rcp_f32_e32 v3, v2
	v_div_scale_f32 v5, vcc, s12, v1, s12
	s_mov_b32 s0, 0xf800000
	v_fma_f32 v6, -v2, v3, 1.0
	v_fmac_f32_e32 v3, v6, v3
	v_mul_f32_e32 v6, v5, v3
	v_fma_f32 v7, -v2, v6, v5
	v_fmac_f32_e32 v6, v7, v3
	v_fma_f32 v2, -v2, v6, v5
	v_div_fmas_f32 v2, v2, v3, v6
	v_div_fixup_f32 v2, v2, v1, s12
	v_add_f32_e32 v2, -2.0, v2
	v_mov_b32_e32 v3, 0xa397f665
	v_fmac_f32_e32 v3, 0x22c38d2e, v2
	v_mov_b32_e32 v5, 0xa2c38d2e
	v_fmac_f32_e32 v5, v2, v3
	v_add_f32_e32 v5, 0x24704972, v5
	v_fma_f32 v3, v2, v5, -v3
	v_add_f32_e32 v3, 0xa5417ca4, v3
	v_fma_f32 v5, v2, v3, -v5
	;; [unrolled: 2-line block ×22, first 2 shown]
	v_mul_f32_e32 v3, 0x4f800000, v1
	v_cmp_gt_f32_e32 vcc, s0, v1
	v_cndmask_b32_e32 v1, v1, v3, vcc
	v_sqrt_f32_e32 v3, v1
	v_add_f32_e32 v2, 0x401c2ded, v2
	v_sub_f32_e32 v2, v2, v5
	v_mul_f32_e32 v2, 0.5, v2
	v_add_u32_e32 v5, -1, v3
	v_fma_f32 v6, -v5, v3, v1
	v_cmp_ge_f32_e64 s[0:1], 0, v6
	v_add_u32_e32 v6, 1, v3
	v_cndmask_b32_e64 v5, v3, v5, s[0:1]
	v_fma_f32 v3, -v6, v3, v1
	v_cmp_lt_f32_e64 s[0:1], 0, v3
	v_cndmask_b32_e64 v3, v5, v6, s[0:1]
	v_mul_f32_e32 v5, 0x37800000, v3
	v_cndmask_b32_e32 v3, v3, v5, vcc
	v_mov_b32_e32 v5, 0x260
	v_cmp_class_f32_e32 vcc, v1, v5
	v_cndmask_b32_e32 v1, v3, v1, vcc
	v_div_scale_f32 v3, s[0:1], v1, v1, v2
	v_rcp_f32_e32 v5, v3
	v_fma_f32 v6, -v3, v5, 1.0
	v_fmac_f32_e32 v5, v6, v5
	v_div_scale_f32 v6, vcc, v2, v1, v2
	v_mul_f32_e32 v7, v6, v5
	v_fma_f32 v8, -v3, v7, v6
	v_fmac_f32_e32 v7, v8, v5
	v_fma_f32 v3, -v3, v7, v6
	v_div_fmas_f32 v3, v3, v5, v7
	v_div_fixup_f32 v2, v3, v1, v2
.LBB19_194:
	s_or_b64 exec, exec, s[10:11]
.LBB19_195:
	s_or_b64 exec, exec, s[8:9]
.LBB19_196:
	s_or_b64 exec, exec, s[2:3]
	v_add_u32_e32 v4, 0x80, v4
	global_store_dword v0, v2, s[24:25]
	s_or_b64 exec, exec, s[48:49]
	v_cmp_gt_i32_e32 vcc, s57, v4
	s_and_saveexec_b64 s[48:49], vcc
	s_cbranch_execz .LBB19_174
.LBB19_197:
	s_andn2_b64 vcc, exec, s[6:7]
	s_cbranch_vccnz .LBB19_203
; %bb.198:
	s_mov_b32 s50, 0
	s_andn2_b64 vcc, exec, s[46:47]
	v_mov_b32_e32 v2, 0
	v_mov_b32_e32 v0, 0
	s_cbranch_vccnz .LBB19_209
; %bb.199:
	s_add_i32 s58, s58, 1
	s_cmp_eq_u32 s56, 2
	s_cbranch_scc1 .LBB19_204
; %bb.200:
	s_and_b32 s50, s58, 28
	s_mov_b32 s51, 0
	v_mov_b32_e32 v0, 0
	s_mov_b64 s[46:47], s[4:5]
	v_mov_b32_e32 v3, v4
	v_mov_b32_e32 v2, 0
.LBB19_201:                             ; =>This Inner Loop Header: Depth=1
	s_load_dwordx8 s[16:23], s[46:47], 0x4
	s_load_dwordx4 s[0:3], s[46:47], 0x24
	s_load_dwordx8 s[8:15], s[44:45], 0x0
	s_add_u32 s46, s46, 48
	s_addc_u32 s47, s47, 0
	s_waitcnt lgkmcnt(0)
	v_mul_hi_u32 v1, s17, v3
	v_add_u32_e32 v1, v3, v1
	v_lshrrev_b32_e32 v1, s18, v1
	v_mul_lo_u32 v5, v1, s16
	v_mul_hi_u32 v6, s20, v1
	v_sub_u32_e32 v3, v3, v5
	v_add_u32_e32 v5, v1, v6
	v_lshrrev_b32_e32 v5, s21, v5
	v_mul_lo_u32 v7, v5, s19
	v_mul_hi_u32 v8, s23, v5
	v_sub_u32_e32 v1, v1, v7
	v_add_u32_e32 v7, v5, v8
	v_mul_lo_u32 v6, v3, s9
	v_mul_lo_u32 v3, v3, s8
	;; [unrolled: 1-line block ×4, first 2 shown]
	v_lshrrev_b32_e32 v7, s0, v7
	v_add3_u32 v0, v3, v0, v1
	v_mul_hi_u32 v3, s2, v7
	v_add_u32_e32 v3, v7, v3
	v_lshrrev_b32_e32 v3, s3, v3
	s_add_i32 s51, s51, 4
	v_add3_u32 v1, v6, v2, v8
	v_mul_lo_u32 v2, v7, s22
	v_mul_lo_u32 v6, v3, s1
	s_add_u32 s44, s44, 32
	v_sub_u32_e32 v2, v5, v2
	v_sub_u32_e32 v6, v7, v6
	s_addc_u32 s45, s45, 0
	v_mul_lo_u32 v5, v2, s12
	v_mul_lo_u32 v2, v2, s13
	;; [unrolled: 1-line block ×4, first 2 shown]
	s_cmp_eq_u32 s50, s51
	v_add3_u32 v2, v2, v1, v6
	v_add3_u32 v0, v5, v0, v7
	s_cbranch_scc0 .LBB19_201
; %bb.202:
	v_mov_b32_e32 v1, v2
	s_branch .LBB19_205
.LBB19_203:
                                        ; implicit-def: $vgpr2
                                        ; implicit-def: $vgpr0
	s_branch .LBB19_210
.LBB19_204:
	s_mov_b32 s51, s50
	v_pk_mov_b32 v[0:1], s[50:51], s[50:51] op_sel:[0,1]
                                        ; implicit-def: $vgpr2
	v_mov_b32_e32 v3, v4
.LBB19_205:
	s_and_b32 s8, s58, 3
	s_cmp_eq_u32 s8, 0
	s_cbranch_scc1 .LBB19_209
; %bb.206:
	s_lshl_b32 s0, s50, 3
	s_add_u32 s0, s0, s4
	s_addc_u32 s1, s5, 0
	s_add_u32 s0, s0, 0xc4
	s_addc_u32 s1, s1, 0
	s_mul_i32 s2, s50, 12
	s_add_u32 s2, s4, s2
	s_addc_u32 s3, s5, 0
.LBB19_207:                             ; =>This Inner Loop Header: Depth=1
	s_load_dwordx2 s[10:11], s[2:3], 0x4
	s_load_dword s9, s[2:3], 0xc
	s_load_dwordx2 s[12:13], s[0:1], 0x0
	v_mov_b32_e32 v2, v1
	s_add_u32 s2, s2, 12
	s_waitcnt lgkmcnt(0)
	v_mul_hi_u32 v1, s11, v3
	v_add_u32_e32 v1, v3, v1
	v_lshrrev_b32_e32 v1, s9, v1
	s_addc_u32 s3, s3, 0
	v_mul_lo_u32 v5, v1, s10
	s_add_u32 s0, s0, 8
	v_sub_u32_e32 v5, v3, v5
	v_mov_b32_e32 v3, v1
	s_addc_u32 s1, s1, 0
	s_add_i32 s8, s8, -1
	v_mad_u64_u32 v[6:7], s[10:11], v5, s13, v[2:3]
	v_mad_u64_u32 v[0:1], s[10:11], v5, s12, v[0:1]
	s_cmp_lg_u32 s8, 0
	v_mov_b32_e32 v1, v6
	s_cbranch_scc1 .LBB19_207
; %bb.208:
	v_mov_b32_e32 v2, v1
.LBB19_209:
	s_cbranch_execnz .LBB19_212
.LBB19_210:
	s_waitcnt lgkmcnt(0)
	v_mul_hi_u32 v0, s37, v4
	v_add_u32_e32 v0, v4, v0
	v_lshrrev_b32_e32 v1, s38, v0
	v_mul_lo_u32 v0, v1, s36
	v_sub_u32_e32 v0, v4, v0
	v_mul_lo_u32 v2, v0, s29
	s_andn2_b64 vcc, exec, s[42:43]
	v_mul_lo_u32 v0, v0, s28
	s_cbranch_vccnz .LBB19_212
; %bb.211:
	v_mul_hi_u32 v3, s40, v1
	v_add_u32_e32 v3, v1, v3
	v_lshrrev_b32_e32 v3, s41, v3
	v_mul_lo_u32 v3, v3, s39
	v_sub_u32_e32 v3, v1, v3
	v_mad_u64_u32 v[0:1], s[0:1], v3, s30, v[0:1]
	v_mad_u64_u32 v[2:3], s[0:1], v3, s31, v[2:3]
.LBB19_212:
	s_waitcnt lgkmcnt(0)
	global_load_dword v1, v2, s[26:27]
	v_mov_b32_e32 v2, 0x7f800000
	s_waitcnt vmcnt(0)
	v_cmp_neq_f32_e32 vcc, 0, v1
	s_and_saveexec_b64 s[2:3], vcc
	s_cbranch_execz .LBB19_224
; %bb.213:
	v_cmp_ngt_f32_e32 vcc, 0, v1
	v_mov_b32_e32 v2, 0x7fc00000
	s_and_saveexec_b64 s[8:9], vcc
	s_cbranch_execz .LBB19_223
; %bb.214:
	v_cmp_ge_f32_e32 vcc, 2.0, v1
                                        ; implicit-def: $vgpr2
	s_and_saveexec_b64 s[0:1], vcc
	s_xor_b64 s[10:11], exec, s[0:1]
	s_cbranch_execz .LBB19_220
; %bb.215:
	s_mov_b32 s0, 0x41000000
	v_mul_f32_e32 v2, 0.5, v1
	v_cmp_ge_f32_e32 vcc, s0, v1
                                        ; implicit-def: $vgpr4
                                        ; implicit-def: $vgpr3
	s_and_saveexec_b64 s[0:1], vcc
	s_xor_b64 s[0:1], exec, s[0:1]
	s_cbranch_execz .LBB19_217
; %bb.216:
	v_add_f32_e32 v3, -2.0, v2
	v_mov_b32_e32 v4, 0x24199b15
	v_fmac_f32_e32 v4, 0xa2a2e5b9, v3
	v_mov_b32_e32 v5, 0x22a2e5b9
	v_fmac_f32_e32 v5, v3, v4
	v_add_f32_e32 v5, 0xa58c275c, v5
	v_fma_f32 v4, v3, v5, -v4
	v_add_f32_e32 v4, 0x26f736c5, v4
	v_fma_f32 v5, v3, v4, -v5
	v_add_f32_e32 v5, 0xa8528116, v5
	v_fma_f32 v4, v3, v5, -v4
	v_add_f32_e32 v4, 0x29acda32, v4
	v_fma_f32 v5, v3, v4, -v5
	v_add_f32_e32 v5, 0xab08b263, v5
	v_fma_f32 v4, v3, v5, -v4
	v_add_f32_e32 v4, 0x2c4ff17f, v4
	v_fma_f32 v5, v3, v4, -v5
	v_add_f32_e32 v5, 0xad97e4ac, v5
	v_fma_f32 v4, v3, v5, -v4
	v_add_f32_e32 v4, 0x2ed4c5f6, v4
	v_fma_f32 v5, v3, v4, -v5
	v_add_f32_e32 v5, 0xb00ea7f1, v5
	v_fma_f32 v4, v3, v5, -v4
	v_add_f32_e32 v4, 0x3136c81d, v4
	v_fma_f32 v5, v3, v4, -v5
	v_add_f32_e32 v5, 0xb25f57b4, v5
	v_fma_f32 v4, v3, v5, -v4
	v_add_f32_e32 v4, 0x3381dbb5, v4
	v_fma_f32 v5, v3, v4, -v5
	v_add_f32_e32 v5, 0xb48f631c, v5
	v_fma_f32 v4, v3, v5, -v4
	v_add_f32_e32 v4, 0x3595f925, v4
	v_fma_f32 v5, v3, v4, -v5
	v_add_f32_e32 v5, 0xb694337e, v5
	v_fma_f32 v4, v3, v5, -v4
	v_add_f32_e32 v4, 0x3789fac6, v4
	v_fma_f32 v5, v3, v4, -v5
	v_add_f32_e32 v5, 0xb8715933, v5
	v_fma_f32 v4, v3, v5, -v4
	v_add_f32_e32 v4, 0x3945a8dc, v4
	v_fma_f32 v5, v3, v4, -v5
	v_add_f32_e32 v5, 0xba1717e9, v5
	v_fma_f32 v4, v3, v5, -v4
	v_add_f32_e32 v4, 0x3ad6e3ac, v4
	v_fma_f32 v5, v3, v4, -v5
	v_add_f32_e32 v5, 0xbb8db2f1, v5
	v_fma_f32 v4, v3, v5, -v4
	v_add_f32_e32 v4, 0x3c2ccb10, v4
	v_fma_f32 v5, v3, v4, -v5
	v_add_f32_e32 v5, 0xbcc274f8, v5
	v_fma_f32 v4, v3, v5, -v4
	v_mul_f32_e32 v6, 0x3fb8aa3b, v1
	v_add_f32_e32 v4, 0x3d49f456, v4
	s_mov_b32 s12, 0x3fb8aa3b
	v_rndne_f32_e32 v7, v6
	v_fma_f32 v5, v3, v4, -v5
	v_sub_f32_e32 v8, v6, v7
	v_fma_f32 v6, v1, s12, -v6
	v_add_f32_e32 v5, 0xbdc25b82, v5
	v_fmac_f32_e32 v6, 0x32a5705f, v1
	v_fma_f32 v4, v3, v5, -v4
	v_add_f32_e32 v6, v8, v6
	v_add_f32_e32 v4, 0x3e2fbd64, v4
	v_exp_f32_e32 v6, v6
	v_cvt_i32_f32_e32 v7, v7
	v_fma_f32 v5, v3, v4, -v5
	v_add_f32_e32 v5, 0xbe9bff5e, v5
	v_fma_f32 v3, v3, v5, -v4
	s_mov_b32 s12, 0xc2ce8ed0
	v_add_f32_e32 v5, 0x3f2d4275, v3
	v_ldexp_f32 v3, v6, v7
	v_cmp_ngt_f32_e32 vcc, s12, v1
	s_mov_b32 s12, 0x42b17218
	v_cndmask_b32_e32 v3, 0, v3, vcc
	v_mov_b32_e32 v6, 0x7f800000
	v_cmp_nlt_f32_e32 vcc, s12, v1
	v_sub_f32_e32 v4, v5, v4
	v_cndmask_b32_e32 v3, v6, v3, vcc
	v_mul_f32_e32 v4, 0.5, v4
	v_mul_f32_e32 v4, v3, v4
.LBB19_217:
	s_andn2_saveexec_b64 s[12:13], s[0:1]
	s_cbranch_execz .LBB19_219
; %bb.218:
	s_mov_b32 s14, 0x42000000
	v_div_scale_f32 v3, s[0:1], v1, v1, s14
	v_rcp_f32_e32 v4, v3
	v_div_scale_f32 v5, vcc, s14, v1, s14
	s_mov_b32 s0, 0x3fb8aa3b
	v_fma_f32 v6, -v3, v4, 1.0
	v_fmac_f32_e32 v4, v6, v4
	v_mul_f32_e32 v6, v5, v4
	v_fma_f32 v7, -v3, v6, v5
	v_fmac_f32_e32 v6, v7, v4
	v_fma_f32 v3, -v3, v6, v5
	v_div_fmas_f32 v3, v3, v4, v6
	v_div_fixup_f32 v3, v3, v1, s14
	v_add_f32_e32 v3, -2.0, v3
	v_mov_b32_e32 v4, 0xa2b236d3
	v_fmac_f32_e32 v4, 0xa3056dbb, v3
	v_mov_b32_e32 v5, 0x23056dbb
	v_fmac_f32_e32 v5, v3, v4
	v_add_f32_e32 v5, 0x244df0c1, v5
	v_fma_f32 v4, v3, v5, -v4
	v_add_f32_e32 v4, 0x241f9ee8, v4
	v_fma_f32 v5, v3, v4, -v5
	;; [unrolled: 2-line block ×18, first 2 shown]
	v_mul_f32_e32 v6, 0x3fb8aa3b, v1
	v_add_f32_e32 v5, 0x345c003f, v5
	v_rndne_f32_e32 v7, v6
	v_fma_f32 v4, v3, v5, -v4
	v_sub_f32_e32 v8, v6, v7
	v_fma_f32 v6, v1, s0, -v6
	v_add_f32_e32 v4, 0x3642095e, v4
	v_fmac_f32_e32 v6, 0x32a5705f, v1
	v_fma_f32 v5, v3, v4, -v5
	v_add_f32_e32 v6, v8, v6
	v_add_f32_e32 v5, 0x38907d1c, v5
	v_exp_f32_e32 v6, v6
	v_cvt_i32_f32_e32 v7, v7
	v_fma_f32 v4, v3, v5, -v4
	v_add_f32_e32 v4, 0x3b5ccc65, v4
	v_fma_f32 v3, v3, v4, -v5
	s_mov_b32 s0, 0xc2ce8ed0
	v_add_f32_e32 v4, 0x3f4df315, v3
	v_ldexp_f32 v3, v6, v7
	v_cmp_ngt_f32_e32 vcc, s0, v1
	s_mov_b32 s0, 0x42b17218
	v_cndmask_b32_e32 v3, 0, v3, vcc
	v_mov_b32_e32 v6, 0x7f800000
	v_cmp_nlt_f32_e32 vcc, s0, v1
	s_mov_b32 s0, 0xf800000
	v_cndmask_b32_e32 v3, v6, v3, vcc
	v_mul_f32_e32 v6, 0x4f800000, v1
	v_cmp_gt_f32_e32 vcc, s0, v1
	v_cndmask_b32_e32 v6, v1, v6, vcc
	v_sqrt_f32_e32 v7, v6
	v_sub_f32_e32 v4, v4, v5
	v_mul_f32_e32 v4, 0.5, v4
	v_mul_f32_e32 v4, v3, v4
	v_add_u32_e32 v5, -1, v7
	v_fma_f32 v8, -v5, v7, v6
	v_cmp_ge_f32_e64 s[0:1], 0, v8
	v_add_u32_e32 v8, 1, v7
	v_cndmask_b32_e64 v5, v7, v5, s[0:1]
	v_fma_f32 v7, -v8, v7, v6
	v_cmp_lt_f32_e64 s[0:1], 0, v7
	v_cndmask_b32_e64 v5, v5, v8, s[0:1]
	v_mul_f32_e32 v7, 0x37800000, v5
	v_cndmask_b32_e32 v5, v5, v7, vcc
	v_mov_b32_e32 v7, 0x260
	v_cmp_class_f32_e32 vcc, v6, v7
	v_cndmask_b32_e32 v5, v5, v6, vcc
	v_div_scale_f32 v6, s[0:1], v5, v5, v4
	v_rcp_f32_e32 v7, v6
	v_fma_f32 v8, -v6, v7, 1.0
	v_fmac_f32_e32 v7, v8, v7
	v_div_scale_f32 v8, vcc, v4, v5, v4
	v_mul_f32_e32 v9, v8, v7
	v_fma_f32 v10, -v6, v9, v8
	v_fmac_f32_e32 v9, v10, v7
	v_fma_f32 v6, -v6, v9, v8
	v_div_fmas_f32 v6, v6, v7, v9
	v_div_fixup_f32 v4, v6, v5, v4
.LBB19_219:
	s_or_b64 exec, exec, s[12:13]
	v_fma_f32 v1, v1, v1, -2.0
	v_mov_b32_e32 v5, 0x293fd856
	v_fmac_f32_e32 v5, 0x251e770f, v1
	v_mov_b32_e32 v6, 0xa51e770f
	v_fmac_f32_e32 v6, v1, v5
	v_add_f32_e32 v6, 0x2d3612e2, v6
	v_fma_f32 v5, v1, v6, -v5
	v_add_f32_e32 v5, 0x3102e09b, v5
	v_fma_f32 v6, v1, v5, -v6
	;; [unrolled: 2-line block ×6, first 2 shown]
	v_add_f32_e32 v6, 0x3eb046c4, v6
	s_mov_b32 s0, 0x800000
	v_fma_f32 v1, v1, v6, -v5
	v_mov_b32_e32 v6, 0x4f800000
	v_cmp_gt_f32_e32 vcc, s0, v2
	v_cndmask_b32_e32 v6, 1.0, v6, vcc
	v_mul_f32_e32 v2, v2, v6
	v_log_f32_e32 v2, v2
	v_add_f32_e32 v1, 0xbf090b37, v1
	v_sub_f32_e32 v1, v1, v5
	s_mov_b32 s0, 0x3f317217
	v_mul_f32_e32 v5, 0x3f317217, v2
	v_fma_f32 v6, v2, s0, -v5
	v_fmac_f32_e32 v6, 0x3377d1cf, v2
	s_mov_b32 s0, 0x7f800000
	v_add_f32_e32 v5, v5, v6
	v_cmp_lt_f32_e64 s[0:1], |v2|, s0
	v_cndmask_b32_e64 v2, v2, v5, s[0:1]
	v_mov_b32_e32 v5, 0x41b17218
	v_cndmask_b32_e32 v5, 0, v5, vcc
	v_sub_f32_e32 v2, v2, v5
	v_mul_f32_e32 v2, v2, v4
	v_fma_f32 v1, v1, 0.5, -v2
	v_mul_f32_e32 v2, v3, v1
                                        ; implicit-def: $vgpr1
.LBB19_220:
	s_andn2_saveexec_b64 s[10:11], s[10:11]
	s_cbranch_execz .LBB19_222
; %bb.221:
	s_mov_b32 s12, 0x41000000
	v_div_scale_f32 v2, s[0:1], v1, v1, s12
	v_rcp_f32_e32 v3, v2
	v_div_scale_f32 v4, vcc, s12, v1, s12
	s_mov_b32 s0, 0xf800000
	v_fma_f32 v5, -v2, v3, 1.0
	v_fmac_f32_e32 v3, v5, v3
	v_mul_f32_e32 v5, v4, v3
	v_fma_f32 v6, -v2, v5, v4
	v_fmac_f32_e32 v5, v6, v3
	v_fma_f32 v2, -v2, v5, v4
	v_div_fmas_f32 v2, v2, v3, v5
	v_div_fixup_f32 v2, v2, v1, s12
	v_add_f32_e32 v2, -2.0, v2
	v_mov_b32_e32 v3, 0xa397f665
	v_fmac_f32_e32 v3, 0x22c38d2e, v2
	v_mov_b32_e32 v4, 0xa2c38d2e
	v_fmac_f32_e32 v4, v2, v3
	v_add_f32_e32 v4, 0x24704972, v4
	v_fma_f32 v3, v2, v4, -v3
	v_add_f32_e32 v3, 0xa5417ca4, v3
	v_fma_f32 v4, v2, v3, -v4
	;; [unrolled: 2-line block ×22, first 2 shown]
	v_mul_f32_e32 v3, 0x4f800000, v1
	v_cmp_gt_f32_e32 vcc, s0, v1
	v_cndmask_b32_e32 v1, v1, v3, vcc
	v_sqrt_f32_e32 v3, v1
	v_add_f32_e32 v2, 0x401c2ded, v2
	v_sub_f32_e32 v2, v2, v4
	v_mul_f32_e32 v2, 0.5, v2
	v_add_u32_e32 v4, -1, v3
	v_fma_f32 v5, -v4, v3, v1
	v_cmp_ge_f32_e64 s[0:1], 0, v5
	v_add_u32_e32 v5, 1, v3
	v_cndmask_b32_e64 v4, v3, v4, s[0:1]
	v_fma_f32 v3, -v5, v3, v1
	v_cmp_lt_f32_e64 s[0:1], 0, v3
	v_cndmask_b32_e64 v3, v4, v5, s[0:1]
	v_mul_f32_e32 v4, 0x37800000, v3
	v_cndmask_b32_e32 v3, v3, v4, vcc
	v_mov_b32_e32 v4, 0x260
	v_cmp_class_f32_e32 vcc, v1, v4
	v_cndmask_b32_e32 v1, v3, v1, vcc
	v_div_scale_f32 v3, s[0:1], v1, v1, v2
	v_rcp_f32_e32 v4, v3
	v_fma_f32 v5, -v3, v4, 1.0
	v_fmac_f32_e32 v4, v5, v4
	v_div_scale_f32 v5, vcc, v2, v1, v2
	v_mul_f32_e32 v6, v5, v4
	v_fma_f32 v7, -v3, v6, v5
	v_fmac_f32_e32 v6, v7, v4
	v_fma_f32 v3, -v3, v6, v5
	v_div_fmas_f32 v3, v3, v4, v6
	v_div_fixup_f32 v2, v3, v1, v2
.LBB19_222:
	s_or_b64 exec, exec, s[10:11]
.LBB19_223:
	s_or_b64 exec, exec, s[8:9]
.LBB19_224:
	s_or_b64 exec, exec, s[2:3]
	global_store_dword v0, v2, s[24:25]
	s_or_b64 exec, exec, s[48:49]
                                        ; implicit-def: $vgpr9
                                        ; implicit-def: $vgpr4
	s_andn2_saveexec_b64 s[0:1], s[34:35]
	s_cbranch_execz .LBB19_175
	s_branch .LBB19_9
	.section	.rodata,"a",@progbits
	.p2align	6, 0x0
	.amdhsa_kernel _ZN2at6native32elementwise_kernel_manual_unrollILi128ELi4EZNS0_22gpu_kernel_impl_nocastIZZZNS0_12_GLOBAL__N_137scaled_modified_bessel_k0_kernel_cudaERNS_18TensorIteratorBaseEENKUlvE_clEvENKUlvE0_clEvEUlfE_EEvS5_RKT_EUlibE_EEviT1_
		.amdhsa_group_segment_fixed_size 0
		.amdhsa_private_segment_fixed_size 0
		.amdhsa_kernarg_size 360
		.amdhsa_user_sgpr_count 6
		.amdhsa_user_sgpr_private_segment_buffer 1
		.amdhsa_user_sgpr_dispatch_ptr 0
		.amdhsa_user_sgpr_queue_ptr 0
		.amdhsa_user_sgpr_kernarg_segment_ptr 1
		.amdhsa_user_sgpr_dispatch_id 0
		.amdhsa_user_sgpr_flat_scratch_init 0
		.amdhsa_user_sgpr_kernarg_preload_length 0
		.amdhsa_user_sgpr_kernarg_preload_offset 0
		.amdhsa_user_sgpr_private_segment_size 0
		.amdhsa_uses_dynamic_stack 0
		.amdhsa_system_sgpr_private_segment_wavefront_offset 0
		.amdhsa_system_sgpr_workgroup_id_x 1
		.amdhsa_system_sgpr_workgroup_id_y 0
		.amdhsa_system_sgpr_workgroup_id_z 0
		.amdhsa_system_sgpr_workgroup_info 0
		.amdhsa_system_vgpr_workitem_id 0
		.amdhsa_next_free_vgpr 18
		.amdhsa_next_free_sgpr 60
		.amdhsa_accum_offset 20
		.amdhsa_reserve_vcc 1
		.amdhsa_reserve_flat_scratch 0
		.amdhsa_float_round_mode_32 0
		.amdhsa_float_round_mode_16_64 0
		.amdhsa_float_denorm_mode_32 3
		.amdhsa_float_denorm_mode_16_64 3
		.amdhsa_dx10_clamp 1
		.amdhsa_ieee_mode 1
		.amdhsa_fp16_overflow 0
		.amdhsa_tg_split 0
		.amdhsa_exception_fp_ieee_invalid_op 0
		.amdhsa_exception_fp_denorm_src 0
		.amdhsa_exception_fp_ieee_div_zero 0
		.amdhsa_exception_fp_ieee_overflow 0
		.amdhsa_exception_fp_ieee_underflow 0
		.amdhsa_exception_fp_ieee_inexact 0
		.amdhsa_exception_int_div_zero 0
	.end_amdhsa_kernel
	.section	.text._ZN2at6native32elementwise_kernel_manual_unrollILi128ELi4EZNS0_22gpu_kernel_impl_nocastIZZZNS0_12_GLOBAL__N_137scaled_modified_bessel_k0_kernel_cudaERNS_18TensorIteratorBaseEENKUlvE_clEvENKUlvE0_clEvEUlfE_EEvS5_RKT_EUlibE_EEviT1_,"axG",@progbits,_ZN2at6native32elementwise_kernel_manual_unrollILi128ELi4EZNS0_22gpu_kernel_impl_nocastIZZZNS0_12_GLOBAL__N_137scaled_modified_bessel_k0_kernel_cudaERNS_18TensorIteratorBaseEENKUlvE_clEvENKUlvE0_clEvEUlfE_EEvS5_RKT_EUlibE_EEviT1_,comdat
.Lfunc_end19:
	.size	_ZN2at6native32elementwise_kernel_manual_unrollILi128ELi4EZNS0_22gpu_kernel_impl_nocastIZZZNS0_12_GLOBAL__N_137scaled_modified_bessel_k0_kernel_cudaERNS_18TensorIteratorBaseEENKUlvE_clEvENKUlvE0_clEvEUlfE_EEvS5_RKT_EUlibE_EEviT1_, .Lfunc_end19-_ZN2at6native32elementwise_kernel_manual_unrollILi128ELi4EZNS0_22gpu_kernel_impl_nocastIZZZNS0_12_GLOBAL__N_137scaled_modified_bessel_k0_kernel_cudaERNS_18TensorIteratorBaseEENKUlvE_clEvENKUlvE0_clEvEUlfE_EEvS5_RKT_EUlibE_EEviT1_
                                        ; -- End function
	.section	.AMDGPU.csdata,"",@progbits
; Kernel info:
; codeLenInByte = 25148
; NumSgprs: 64
; NumVgprs: 18
; NumAgprs: 0
; TotalNumVgprs: 18
; ScratchSize: 0
; MemoryBound: 0
; FloatMode: 240
; IeeeMode: 1
; LDSByteSize: 0 bytes/workgroup (compile time only)
; SGPRBlocks: 7
; VGPRBlocks: 2
; NumSGPRsForWavesPerEU: 64
; NumVGPRsForWavesPerEU: 18
; AccumOffset: 20
; Occupancy: 8
; WaveLimiterHint : 1
; COMPUTE_PGM_RSRC2:SCRATCH_EN: 0
; COMPUTE_PGM_RSRC2:USER_SGPR: 6
; COMPUTE_PGM_RSRC2:TRAP_HANDLER: 0
; COMPUTE_PGM_RSRC2:TGID_X_EN: 1
; COMPUTE_PGM_RSRC2:TGID_Y_EN: 0
; COMPUTE_PGM_RSRC2:TGID_Z_EN: 0
; COMPUTE_PGM_RSRC2:TIDIG_COMP_CNT: 0
; COMPUTE_PGM_RSRC3_GFX90A:ACCUM_OFFSET: 4
; COMPUTE_PGM_RSRC3_GFX90A:TG_SPLIT: 0
	.section	.text._ZN2at6native32elementwise_kernel_manual_unrollILi128ELi4EZNS0_15gpu_kernel_implIZZZNS0_12_GLOBAL__N_137scaled_modified_bessel_k0_kernel_cudaERNS_18TensorIteratorBaseEENKUlvE_clEvENKUlvE0_clEvEUlfE_EEvS5_RKT_EUlibE_EEviT1_,"axG",@progbits,_ZN2at6native32elementwise_kernel_manual_unrollILi128ELi4EZNS0_15gpu_kernel_implIZZZNS0_12_GLOBAL__N_137scaled_modified_bessel_k0_kernel_cudaERNS_18TensorIteratorBaseEENKUlvE_clEvENKUlvE0_clEvEUlfE_EEvS5_RKT_EUlibE_EEviT1_,comdat
	.globl	_ZN2at6native32elementwise_kernel_manual_unrollILi128ELi4EZNS0_15gpu_kernel_implIZZZNS0_12_GLOBAL__N_137scaled_modified_bessel_k0_kernel_cudaERNS_18TensorIteratorBaseEENKUlvE_clEvENKUlvE0_clEvEUlfE_EEvS5_RKT_EUlibE_EEviT1_ ; -- Begin function _ZN2at6native32elementwise_kernel_manual_unrollILi128ELi4EZNS0_15gpu_kernel_implIZZZNS0_12_GLOBAL__N_137scaled_modified_bessel_k0_kernel_cudaERNS_18TensorIteratorBaseEENKUlvE_clEvENKUlvE0_clEvEUlfE_EEvS5_RKT_EUlibE_EEviT1_
	.p2align	8
	.type	_ZN2at6native32elementwise_kernel_manual_unrollILi128ELi4EZNS0_15gpu_kernel_implIZZZNS0_12_GLOBAL__N_137scaled_modified_bessel_k0_kernel_cudaERNS_18TensorIteratorBaseEENKUlvE_clEvENKUlvE0_clEvEUlfE_EEvS5_RKT_EUlibE_EEviT1_,@function
_ZN2at6native32elementwise_kernel_manual_unrollILi128ELi4EZNS0_15gpu_kernel_implIZZZNS0_12_GLOBAL__N_137scaled_modified_bessel_k0_kernel_cudaERNS_18TensorIteratorBaseEENKUlvE_clEvENKUlvE0_clEvEUlfE_EEvS5_RKT_EUlibE_EEviT1_: ; @_ZN2at6native32elementwise_kernel_manual_unrollILi128ELi4EZNS0_15gpu_kernel_implIZZZNS0_12_GLOBAL__N_137scaled_modified_bessel_k0_kernel_cudaERNS_18TensorIteratorBaseEENKUlvE_clEvENKUlvE0_clEvEUlfE_EEvS5_RKT_EUlibE_EEviT1_
; %bb.0:
	v_mov_b32_e32 v1, 0
	global_load_ushort v10, v1, s[4:5] offset:33
	s_load_dwordx4 s[8:11], s[4:5], 0x8
	s_load_dwordx2 s[12:13], s[4:5], 0x18
	s_load_dword s33, s[4:5], 0x0
	v_lshl_or_b32 v8, s6, 9, v0
	v_or_b32_e32 v0, 0x180, v8
	s_mov_b64 s[2:3], 0
	s_mov_b64 s[6:7], 0
	s_waitcnt lgkmcnt(0)
	v_cmp_le_i32_e32 vcc, s33, v0
	s_waitcnt vmcnt(0)
	v_lshrrev_b16_e32 v9, 8, v10
	s_and_saveexec_b64 s[0:1], vcc
	s_xor_b64 s[4:5], exec, s[0:1]
	s_cbranch_execz .LBB20_1075
; %bb.1:
	v_cmp_gt_i32_e32 vcc, s33, v8
	s_mov_b64 s[18:19], -1
	s_mov_b64 s[20:21], 0
	s_mov_b64 s[14:15], 0
	s_and_saveexec_b64 s[16:17], vcc
	s_cbranch_execz .LBB20_264
; %bb.2:
	v_mul_lo_u32 v0, v8, s13
	v_ashrrev_i32_e32 v1, 31, v0
	v_mov_b32_e32 v2, s11
	v_add_co_u32_e32 v0, vcc, s10, v0
	v_addc_co_u32_e32 v1, vcc, v2, v1, vcc
	v_cmp_gt_i16_e32 vcc, 11, v9
	s_cbranch_vccnz .LBB20_9
; %bb.3:
	v_cmp_lt_i16_e32 vcc, 25, v9
	s_cbranch_vccz .LBB20_30
; %bb.4:
	v_cmp_lt_i16_e32 vcc, 28, v9
	s_cbranch_vccz .LBB20_34
	;; [unrolled: 3-line block ×4, first 2 shown]
; %bb.7:
	v_cmp_eq_u16_e32 vcc, 46, v9
	s_cbranch_vccz .LBB20_40
; %bb.8:
	global_load_dword v2, v[0:1], off
	s_mov_b64 s[0:1], -1
	s_waitcnt vmcnt(0)
	v_lshlrev_b32_e32 v2, 16, v2
	s_branch .LBB20_42
.LBB20_9:
                                        ; implicit-def: $vgpr2
	s_mov_b64 s[0:1], 0
	s_cbranch_execnz .LBB20_215
.LBB20_10:
	s_andn2_b64 vcc, exec, s[0:1]
	s_cbranch_vccnz .LBB20_262
.LBB20_11:
	s_waitcnt vmcnt(0)
	v_cmp_neq_f32_e32 vcc, 0, v2
	v_mov_b32_e32 v0, 0x7f800000
	s_and_saveexec_b64 s[6:7], vcc
	s_cbranch_execz .LBB20_23
; %bb.12:
	v_cmp_ngt_f32_e32 vcc, 0, v2
	v_mov_b32_e32 v0, 0x7fc00000
	s_and_saveexec_b64 s[18:19], vcc
	s_cbranch_execz .LBB20_22
; %bb.13:
	v_cmp_ge_f32_e32 vcc, 2.0, v2
                                        ; implicit-def: $vgpr0
	s_and_saveexec_b64 s[0:1], vcc
	s_xor_b64 s[22:23], exec, s[0:1]
	s_cbranch_execz .LBB20_19
; %bb.14:
	s_mov_b32 s0, 0x41000000
	v_mul_f32_e32 v0, 0.5, v2
	v_cmp_ge_f32_e32 vcc, s0, v2
                                        ; implicit-def: $vgpr3
                                        ; implicit-def: $vgpr1
	s_and_saveexec_b64 s[0:1], vcc
	s_xor_b64 s[0:1], exec, s[0:1]
	s_cbranch_execz .LBB20_16
; %bb.15:
	v_add_f32_e32 v1, -2.0, v0
	v_mov_b32_e32 v3, 0x24199b15
	v_fmac_f32_e32 v3, 0xa2a2e5b9, v1
	v_mov_b32_e32 v4, 0x22a2e5b9
	v_fmac_f32_e32 v4, v1, v3
	v_add_f32_e32 v4, 0xa58c275c, v4
	v_fma_f32 v3, v1, v4, -v3
	v_add_f32_e32 v3, 0x26f736c5, v3
	v_fma_f32 v4, v1, v3, -v4
	;; [unrolled: 2-line block ×23, first 2 shown]
	v_mul_f32_e32 v5, 0x3fb8aa3b, v2
	v_add_f32_e32 v3, 0x3d49f456, v3
	s_mov_b32 s24, 0x3fb8aa3b
	v_rndne_f32_e32 v6, v5
	v_fma_f32 v4, v1, v3, -v4
	v_sub_f32_e32 v7, v5, v6
	v_fma_f32 v5, v2, s24, -v5
	v_add_f32_e32 v4, 0xbdc25b82, v4
	v_fmac_f32_e32 v5, 0x32a5705f, v2
	v_fma_f32 v3, v1, v4, -v3
	v_add_f32_e32 v5, v7, v5
	v_add_f32_e32 v3, 0x3e2fbd64, v3
	v_exp_f32_e32 v5, v5
	v_cvt_i32_f32_e32 v6, v6
	v_fma_f32 v4, v1, v3, -v4
	v_add_f32_e32 v4, 0xbe9bff5e, v4
	v_fma_f32 v1, v1, v4, -v3
	s_mov_b32 s24, 0xc2ce8ed0
	v_add_f32_e32 v4, 0x3f2d4275, v1
	v_ldexp_f32 v1, v5, v6
	v_cmp_ngt_f32_e32 vcc, s24, v2
	s_mov_b32 s24, 0x42b17218
	v_cndmask_b32_e32 v1, 0, v1, vcc
	v_mov_b32_e32 v5, 0x7f800000
	v_cmp_nlt_f32_e32 vcc, s24, v2
	v_sub_f32_e32 v3, v4, v3
	v_cndmask_b32_e32 v1, v5, v1, vcc
	v_mul_f32_e32 v3, 0.5, v3
	v_mul_f32_e32 v3, v1, v3
.LBB20_16:
	s_andn2_saveexec_b64 s[24:25], s[0:1]
	s_cbranch_execz .LBB20_18
; %bb.17:
	s_mov_b32 s26, 0x42000000
	v_div_scale_f32 v1, s[0:1], v2, v2, s26
	v_rcp_f32_e32 v3, v1
	v_div_scale_f32 v4, vcc, s26, v2, s26
	s_mov_b32 s0, 0x3fb8aa3b
	v_fma_f32 v5, -v1, v3, 1.0
	v_fmac_f32_e32 v3, v5, v3
	v_mul_f32_e32 v5, v4, v3
	v_fma_f32 v6, -v1, v5, v4
	v_fmac_f32_e32 v5, v6, v3
	v_fma_f32 v1, -v1, v5, v4
	v_div_fmas_f32 v1, v1, v3, v5
	v_div_fixup_f32 v1, v1, v2, s26
	v_add_f32_e32 v1, -2.0, v1
	v_mov_b32_e32 v3, 0xa2b236d3
	v_fmac_f32_e32 v3, 0xa3056dbb, v1
	v_mov_b32_e32 v4, 0x23056dbb
	v_fmac_f32_e32 v4, v1, v3
	v_add_f32_e32 v4, 0x244df0c1, v4
	v_fma_f32 v3, v1, v4, -v3
	v_add_f32_e32 v3, 0x241f9ee8, v3
	v_fma_f32 v4, v1, v3, -v4
	;; [unrolled: 2-line block ×18, first 2 shown]
	v_mul_f32_e32 v5, 0x3fb8aa3b, v2
	v_add_f32_e32 v4, 0x345c003f, v4
	v_rndne_f32_e32 v6, v5
	v_fma_f32 v3, v1, v4, -v3
	v_sub_f32_e32 v7, v5, v6
	v_fma_f32 v5, v2, s0, -v5
	v_add_f32_e32 v3, 0x3642095e, v3
	v_fmac_f32_e32 v5, 0x32a5705f, v2
	v_fma_f32 v4, v1, v3, -v4
	v_add_f32_e32 v5, v7, v5
	v_add_f32_e32 v4, 0x38907d1c, v4
	v_exp_f32_e32 v5, v5
	v_cvt_i32_f32_e32 v6, v6
	v_fma_f32 v3, v1, v4, -v3
	v_add_f32_e32 v3, 0x3b5ccc65, v3
	v_fma_f32 v1, v1, v3, -v4
	s_mov_b32 s0, 0xc2ce8ed0
	v_add_f32_e32 v3, 0x3f4df315, v1
	v_ldexp_f32 v1, v5, v6
	v_cmp_ngt_f32_e32 vcc, s0, v2
	s_mov_b32 s0, 0x42b17218
	v_cndmask_b32_e32 v1, 0, v1, vcc
	v_mov_b32_e32 v5, 0x7f800000
	v_cmp_nlt_f32_e32 vcc, s0, v2
	s_mov_b32 s0, 0xf800000
	v_cndmask_b32_e32 v1, v5, v1, vcc
	v_mul_f32_e32 v5, 0x4f800000, v2
	v_cmp_gt_f32_e32 vcc, s0, v2
	v_cndmask_b32_e32 v5, v2, v5, vcc
	v_sqrt_f32_e32 v6, v5
	v_sub_f32_e32 v3, v3, v4
	v_mul_f32_e32 v3, 0.5, v3
	v_mul_f32_e32 v3, v1, v3
	v_add_u32_e32 v4, -1, v6
	v_fma_f32 v7, -v4, v6, v5
	v_cmp_ge_f32_e64 s[0:1], 0, v7
	v_add_u32_e32 v7, 1, v6
	v_cndmask_b32_e64 v4, v6, v4, s[0:1]
	v_fma_f32 v6, -v7, v6, v5
	v_cmp_lt_f32_e64 s[0:1], 0, v6
	v_cndmask_b32_e64 v4, v4, v7, s[0:1]
	v_mul_f32_e32 v6, 0x37800000, v4
	v_cndmask_b32_e32 v4, v4, v6, vcc
	v_mov_b32_e32 v6, 0x260
	v_cmp_class_f32_e32 vcc, v5, v6
	v_cndmask_b32_e32 v4, v4, v5, vcc
	v_div_scale_f32 v5, s[0:1], v4, v4, v3
	v_rcp_f32_e32 v6, v5
	v_fma_f32 v7, -v5, v6, 1.0
	v_fmac_f32_e32 v6, v7, v6
	v_div_scale_f32 v7, vcc, v3, v4, v3
	v_mul_f32_e32 v11, v7, v6
	v_fma_f32 v12, -v5, v11, v7
	v_fmac_f32_e32 v11, v12, v6
	v_fma_f32 v5, -v5, v11, v7
	v_div_fmas_f32 v5, v5, v6, v11
	v_div_fixup_f32 v3, v5, v4, v3
.LBB20_18:
	s_or_b64 exec, exec, s[24:25]
	v_fma_f32 v2, v2, v2, -2.0
	v_mov_b32_e32 v4, 0x293fd856
	v_fmac_f32_e32 v4, 0x251e770f, v2
	v_mov_b32_e32 v5, 0xa51e770f
	v_fmac_f32_e32 v5, v2, v4
	v_add_f32_e32 v5, 0x2d3612e2, v5
	v_fma_f32 v4, v2, v5, -v4
	v_add_f32_e32 v4, 0x3102e09b, v4
	v_fma_f32 v5, v2, v4, -v5
	;; [unrolled: 2-line block ×6, first 2 shown]
	v_add_f32_e32 v5, 0x3eb046c4, v5
	s_mov_b32 s0, 0x800000
	v_fma_f32 v2, v2, v5, -v4
	v_mov_b32_e32 v5, 0x4f800000
	v_cmp_gt_f32_e32 vcc, s0, v0
	v_cndmask_b32_e32 v5, 1.0, v5, vcc
	v_mul_f32_e32 v0, v0, v5
	v_log_f32_e32 v0, v0
	v_add_f32_e32 v2, 0xbf090b37, v2
	v_sub_f32_e32 v2, v2, v4
	s_mov_b32 s0, 0x3f317217
	v_mul_f32_e32 v4, 0x3f317217, v0
	v_fma_f32 v5, v0, s0, -v4
	v_fmac_f32_e32 v5, 0x3377d1cf, v0
	s_mov_b32 s0, 0x7f800000
	v_add_f32_e32 v4, v4, v5
	v_cmp_lt_f32_e64 s[0:1], |v0|, s0
	v_cndmask_b32_e64 v0, v0, v4, s[0:1]
	v_mov_b32_e32 v4, 0x41b17218
	v_cndmask_b32_e32 v4, 0, v4, vcc
	v_sub_f32_e32 v0, v0, v4
	v_mul_f32_e32 v0, v0, v3
	v_fma_f32 v0, v2, 0.5, -v0
	v_mul_f32_e32 v0, v1, v0
                                        ; implicit-def: $vgpr2
.LBB20_19:
	s_andn2_saveexec_b64 s[22:23], s[22:23]
	s_cbranch_execz .LBB20_21
; %bb.20:
	s_mov_b32 s24, 0x41000000
	v_div_scale_f32 v0, s[0:1], v2, v2, s24
	v_rcp_f32_e32 v1, v0
	v_div_scale_f32 v3, vcc, s24, v2, s24
	s_mov_b32 s0, 0xf800000
	v_fma_f32 v4, -v0, v1, 1.0
	v_fmac_f32_e32 v1, v4, v1
	v_mul_f32_e32 v4, v3, v1
	v_fma_f32 v5, -v0, v4, v3
	v_fmac_f32_e32 v4, v5, v1
	v_fma_f32 v0, -v0, v4, v3
	v_div_fmas_f32 v0, v0, v1, v4
	v_div_fixup_f32 v0, v0, v2, s24
	v_add_f32_e32 v0, -2.0, v0
	v_mov_b32_e32 v1, 0xa397f665
	v_fmac_f32_e32 v1, 0x22c38d2e, v0
	v_mov_b32_e32 v3, 0xa2c38d2e
	v_fmac_f32_e32 v3, v0, v1
	v_add_f32_e32 v3, 0x24704972, v3
	v_fma_f32 v1, v0, v3, -v1
	v_add_f32_e32 v1, 0xa5417ca4, v1
	v_fma_f32 v3, v0, v1, -v3
	;; [unrolled: 2-line block ×22, first 2 shown]
	v_mul_f32_e32 v1, 0x4f800000, v2
	v_cmp_gt_f32_e32 vcc, s0, v2
	v_cndmask_b32_e32 v1, v2, v1, vcc
	v_sqrt_f32_e32 v2, v1
	v_add_f32_e32 v0, 0x401c2ded, v0
	v_sub_f32_e32 v0, v0, v3
	v_mul_f32_e32 v0, 0.5, v0
	v_add_u32_e32 v3, -1, v2
	v_fma_f32 v4, -v3, v2, v1
	v_cmp_ge_f32_e64 s[0:1], 0, v4
	v_add_u32_e32 v4, 1, v2
	v_cndmask_b32_e64 v3, v2, v3, s[0:1]
	v_fma_f32 v2, -v4, v2, v1
	v_cmp_lt_f32_e64 s[0:1], 0, v2
	v_cndmask_b32_e64 v2, v3, v4, s[0:1]
	v_mul_f32_e32 v3, 0x37800000, v2
	v_cndmask_b32_e32 v2, v2, v3, vcc
	v_mov_b32_e32 v3, 0x260
	v_cmp_class_f32_e32 vcc, v1, v3
	v_cndmask_b32_e32 v1, v2, v1, vcc
	v_div_scale_f32 v2, s[0:1], v1, v1, v0
	v_rcp_f32_e32 v3, v2
	v_fma_f32 v4, -v2, v3, 1.0
	v_fmac_f32_e32 v3, v4, v3
	v_div_scale_f32 v4, vcc, v0, v1, v0
	v_mul_f32_e32 v5, v4, v3
	v_fma_f32 v6, -v2, v5, v4
	v_fmac_f32_e32 v5, v6, v3
	v_fma_f32 v2, -v2, v5, v4
	v_div_fmas_f32 v2, v2, v3, v5
	v_div_fixup_f32 v0, v2, v1, v0
.LBB20_21:
	s_or_b64 exec, exec, s[22:23]
.LBB20_22:
	s_or_b64 exec, exec, s[18:19]
.LBB20_23:
	s_or_b64 exec, exec, s[6:7]
	v_mul_lo_u32 v1, v8, s12
	v_ashrrev_i32_e32 v3, 31, v1
	v_mov_b32_e32 v4, s9
	v_add_co_u32_e32 v2, vcc, s8, v1
	v_mov_b32_e32 v1, 11
	v_addc_co_u32_e32 v3, vcc, v4, v3, vcc
	v_cmp_lt_i16_sdwa s[0:1], v10, v1 src0_sel:BYTE_0 src1_sel:DWORD
	s_and_b64 vcc, exec, s[0:1]
	s_cbranch_vccnz .LBB20_31
; %bb.24:
	v_mov_b32_e32 v1, 25
	v_cmp_gt_i16_sdwa s[0:1], v10, v1 src0_sel:BYTE_0 src1_sel:DWORD
	s_and_b64 vcc, exec, s[0:1]
	s_cbranch_vccz .LBB20_35
; %bb.25:
	v_mov_b32_e32 v1, 28
	v_cmp_gt_i16_sdwa s[0:1], v10, v1 src0_sel:BYTE_0 src1_sel:DWORD
	s_and_b64 vcc, exec, s[0:1]
	s_cbranch_vccz .LBB20_37
	;; [unrolled: 5-line block ×4, first 2 shown]
; %bb.28:
	v_mov_b32_e32 v1, 46
	v_cmp_eq_u16_sdwa s[6:7], v10, v1 src0_sel:BYTE_0 src1_sel:DWORD
	s_mov_b64 s[18:19], 0
	s_mov_b64 s[0:1], -1
	s_and_b64 vcc, exec, s[6:7]
	s_mov_b64 s[6:7], 0
	s_cbranch_vccz .LBB20_46
; %bb.29:
	v_bfe_u32 v1, v0, 16, 1
	s_movk_i32 s0, 0x7fff
	v_add3_u32 v1, v0, v1, s0
	v_lshrrev_b32_e32 v1, 16, v1
	v_mov_b32_e32 v4, 0x7fc0
	v_cmp_o_f32_e32 vcc, v0, v0
	v_cndmask_b32_e32 v1, v4, v1, vcc
	global_store_dword v[2:3], v1, off
	s_mov_b64 s[6:7], -1
	s_mov_b64 s[0:1], 0
	s_branch .LBB20_46
.LBB20_30:
	s_mov_b64 s[0:1], 0
                                        ; implicit-def: $vgpr2
	s_cbranch_execnz .LBB20_180
	s_branch .LBB20_214
.LBB20_31:
	s_mov_b64 s[0:1], 0
	s_mov_b64 s[6:7], 0
	s_cbranch_execnz .LBB20_115
.LBB20_32:
	s_andn2_b64 vcc, exec, s[6:7]
	s_cbranch_vccnz .LBB20_153
.LBB20_33:
	v_add_u32_e32 v8, 0x80, v8
	s_mov_b64 s[18:19], -1
	s_branch .LBB20_263
.LBB20_34:
	s_mov_b64 s[6:7], -1
	s_mov_b64 s[0:1], 0
                                        ; implicit-def: $vgpr2
	s_branch .LBB20_161
.LBB20_35:
	s_mov_b64 s[18:19], -1
	s_mov_b64 s[0:1], 0
	s_mov_b64 s[6:7], 0
	s_branch .LBB20_73
.LBB20_36:
	s_mov_b64 s[6:7], -1
	s_mov_b64 s[0:1], 0
                                        ; implicit-def: $vgpr2
	s_branch .LBB20_156
.LBB20_37:
	s_mov_b64 s[18:19], -1
	s_mov_b64 s[0:1], 0
	s_mov_b64 s[6:7], 0
	s_branch .LBB20_56
.LBB20_38:
	s_mov_b64 s[6:7], -1
	s_branch .LBB20_41
.LBB20_39:
	s_mov_b64 s[18:19], -1
	s_mov_b64 s[0:1], 0
	s_mov_b64 s[6:7], 0
	s_branch .LBB20_52
.LBB20_40:
	s_mov_b64 s[14:15], -1
.LBB20_41:
	s_mov_b64 s[0:1], 0
                                        ; implicit-def: $vgpr2
.LBB20_42:
	s_and_b64 vcc, exec, s[6:7]
	s_cbranch_vccz .LBB20_155
; %bb.43:
	v_cmp_eq_u16_e32 vcc, 44, v9
	s_cbranch_vccz .LBB20_154
; %bb.44:
	global_load_ubyte v2, v[0:1], off
	s_movk_i32 s6, 0xff
	v_mov_b32_e32 v3, 0x7f800001
	v_mov_b32_e32 v4, 0x400000
	s_mov_b64 s[0:1], -1
	s_mov_b64 s[14:15], 0
	s_waitcnt vmcnt(0)
	v_lshlrev_b32_e32 v5, 23, v2
	v_cmp_ne_u32_e32 vcc, s6, v2
	v_cndmask_b32_e32 v3, v3, v5, vcc
	v_cmp_ne_u32_e32 vcc, 0, v2
	v_cndmask_b32_e32 v2, v4, v3, vcc
	s_branch .LBB20_155
.LBB20_45:
	s_mov_b64 s[18:19], -1
	s_mov_b64 s[0:1], 0
	s_mov_b64 s[6:7], 0
.LBB20_46:
	s_and_b64 vcc, exec, s[18:19]
	s_cbranch_vccz .LBB20_51
; %bb.47:
	v_mov_b32_e32 v1, 44
	v_cmp_eq_u16_sdwa s[18:19], v10, v1 src0_sel:BYTE_0 src1_sel:DWORD
	s_mov_b64 s[0:1], -1
	s_and_b64 vcc, exec, s[18:19]
	s_cbranch_vccz .LBB20_51
; %bb.48:
	v_bfe_u32 v1, v0, 23, 8
	s_movk_i32 s0, 0xff
	v_cmp_ne_u32_e32 vcc, s0, v1
	v_mov_b32_e32 v4, 0xff
	s_and_saveexec_b64 s[6:7], vcc
; %bb.49:
	s_mov_b32 s0, 0x3fffff
	v_and_b32_e32 v5, 0x400000, v0
	v_and_or_b32 v1, v0, s0, v1
	v_cmp_ne_u32_e32 vcc, 0, v5
	v_cmp_ne_u32_e64 s[0:1], 0, v1
	s_and_b64 s[0:1], vcc, s[0:1]
	v_lshrrev_b32_e32 v4, 23, v0
	v_cndmask_b32_e64 v1, 0, 1, s[0:1]
	v_add_u32_e32 v4, v4, v1
; %bb.50:
	s_or_b64 exec, exec, s[6:7]
	s_mov_b64 s[6:7], -1
	s_mov_b64 s[0:1], 0
	global_store_byte v[2:3], v4, off
.LBB20_51:
	s_mov_b64 s[18:19], 0
.LBB20_52:
	s_and_b64 vcc, exec, s[18:19]
	s_cbranch_vccz .LBB20_55
; %bb.53:
	v_mov_b32_e32 v1, 29
	v_cmp_eq_u16_sdwa s[18:19], v10, v1 src0_sel:BYTE_0 src1_sel:DWORD
	s_mov_b64 s[0:1], -1
	s_and_b64 vcc, exec, s[18:19]
	s_cbranch_vccz .LBB20_55
; %bb.54:
	v_trunc_f32_e32 v1, v0
	v_mul_f32_e32 v4, 0x2f800000, v1
	v_floor_f32_e32 v4, v4
	v_fmac_f32_e32 v1, 0xcf800000, v4
	v_cvt_u32_f32_e32 v5, v4
	v_cvt_u32_f32_e32 v4, v1
	s_mov_b64 s[6:7], -1
	s_mov_b64 s[0:1], 0
	s_mov_b64 s[18:19], 0
	global_store_dwordx2 v[2:3], v[4:5], off
	s_branch .LBB20_56
.LBB20_55:
	s_mov_b64 s[18:19], 0
.LBB20_56:
	s_and_b64 vcc, exec, s[18:19]
	s_cbranch_vccz .LBB20_72
; %bb.57:
	v_mov_b32_e32 v1, 27
	v_cmp_lt_i16_sdwa s[18:19], v10, v1 src0_sel:BYTE_0 src1_sel:DWORD
	s_mov_b64 s[6:7], -1
	s_and_b64 vcc, exec, s[18:19]
	s_cbranch_vccnz .LBB20_63
; %bb.58:
	v_cmp_gt_i16_sdwa s[18:19], v10, v1 src0_sel:BYTE_0 src1_sel:DWORD
	v_cvt_u32_f32_e32 v1, v0
	s_and_b64 vcc, exec, s[18:19]
	s_cbranch_vccz .LBB20_60
; %bb.59:
	s_mov_b64 s[6:7], 0
	global_store_dword v[2:3], v1, off
.LBB20_60:
	s_andn2_b64 vcc, exec, s[6:7]
	s_cbranch_vccnz .LBB20_62
; %bb.61:
	global_store_short v[2:3], v1, off
.LBB20_62:
	s_mov_b64 s[6:7], 0
.LBB20_63:
	s_andn2_b64 vcc, exec, s[6:7]
	s_cbranch_vccnz .LBB20_71
; %bb.64:
	v_and_b32_e32 v1, 0x7fffffff, v0
	s_mov_b32 s6, 0x43800000
	v_cmp_gt_u32_e32 vcc, s6, v1
	v_mov_b32_e32 v4, 0x80
	s_and_saveexec_b64 s[6:7], vcc
	s_cbranch_execz .LBB20_70
; %bb.65:
	s_mov_b32 s18, 0x3bffffff
	v_cmp_lt_u32_e32 vcc, s18, v1
	s_mov_b64 s[18:19], 0
                                        ; implicit-def: $vgpr1
	s_and_saveexec_b64 s[22:23], vcc
	s_xor_b64 s[22:23], exec, s[22:23]
	s_cbranch_execz .LBB20_303
; %bb.66:
	v_bfe_u32 v1, v0, 20, 1
	s_mov_b32 s24, 0x487ffff
	v_add3_u32 v1, v0, v1, s24
	s_mov_b64 s[18:19], exec
	v_lshrrev_b32_e32 v1, 20, v1
	s_or_saveexec_b64 s[22:23], s[22:23]
                                        ; implicit-def: $sgpr24
	s_xor_b64 exec, exec, s[22:23]
	s_cbranch_execnz .LBB20_304
.LBB20_67:
	s_or_b64 exec, exec, s[22:23]
	v_mov_b32_e32 v4, s24
	s_and_saveexec_b64 s[22:23], s[18:19]
.LBB20_68:
	v_lshrrev_b32_e32 v4, 24, v0
	s_movk_i32 s18, 0x80
	v_and_or_b32 v4, v4, s18, v1
.LBB20_69:
	s_or_b64 exec, exec, s[22:23]
.LBB20_70:
	s_or_b64 exec, exec, s[6:7]
	global_store_byte v[2:3], v4, off
.LBB20_71:
	s_mov_b64 s[6:7], -1
.LBB20_72:
	s_mov_b64 s[18:19], 0
.LBB20_73:
	s_and_b64 vcc, exec, s[18:19]
	s_cbranch_vccz .LBB20_114
; %bb.74:
	v_mov_b32_e32 v1, 22
	v_cmp_gt_i16_sdwa s[22:23], v10, v1 src0_sel:BYTE_0 src1_sel:DWORD
	s_mov_b64 s[18:19], -1
	s_and_b64 vcc, exec, s[22:23]
	s_cbranch_vccz .LBB20_106
; %bb.75:
	v_mov_b32_e32 v1, 24
	v_cmp_lt_i16_sdwa s[18:19], v10, v1 src0_sel:BYTE_0 src1_sel:DWORD
	s_mov_b64 s[6:7], -1
	s_and_b64 vcc, exec, s[18:19]
	s_cbranch_vccnz .LBB20_95
; %bb.76:
	v_cmp_gt_i16_sdwa s[18:19], v10, v1 src0_sel:BYTE_0 src1_sel:DWORD
	s_and_b64 vcc, exec, s[18:19]
	s_cbranch_vccz .LBB20_84
; %bb.77:
	v_and_b32_e32 v1, 0x7fffffff, v0
	s_mov_b32 s6, 0x47800000
	v_cmp_gt_u32_e32 vcc, s6, v1
	v_mov_b32_e32 v4, 0x80
	s_and_saveexec_b64 s[6:7], vcc
	s_cbranch_execz .LBB20_83
; %bb.78:
	s_mov_b32 s18, 0x37ffffff
	v_cmp_lt_u32_e32 vcc, s18, v1
	s_mov_b64 s[18:19], 0
                                        ; implicit-def: $vgpr1
	s_and_saveexec_b64 s[22:23], vcc
	s_xor_b64 s[22:23], exec, s[22:23]
	s_cbranch_execz .LBB20_307
; %bb.79:
	v_bfe_u32 v1, v0, 21, 1
	s_mov_b32 s24, 0x88fffff
	v_add3_u32 v1, v0, v1, s24
	s_mov_b64 s[18:19], exec
	v_lshrrev_b32_e32 v1, 21, v1
	s_or_saveexec_b64 s[22:23], s[22:23]
                                        ; implicit-def: $sgpr24
	s_xor_b64 exec, exec, s[22:23]
	s_cbranch_execnz .LBB20_308
.LBB20_80:
	s_or_b64 exec, exec, s[22:23]
	v_mov_b32_e32 v4, s24
	s_and_saveexec_b64 s[22:23], s[18:19]
.LBB20_81:
	v_lshrrev_b32_e32 v4, 24, v0
	s_movk_i32 s18, 0x80
	v_and_or_b32 v4, v4, s18, v1
.LBB20_82:
	s_or_b64 exec, exec, s[22:23]
.LBB20_83:
	s_or_b64 exec, exec, s[6:7]
	s_mov_b64 s[6:7], 0
	global_store_byte v[2:3], v4, off
.LBB20_84:
	s_and_b64 vcc, exec, s[6:7]
	s_cbranch_vccz .LBB20_94
; %bb.85:
	v_and_b32_e32 v4, 0x7fffffff, v0
	s_mov_b32 s6, 0x43f00000
	v_cmp_gt_u32_e32 vcc, s6, v4
                                        ; implicit-def: $vgpr1
	s_and_saveexec_b64 s[6:7], vcc
	s_xor_b64 s[6:7], exec, s[6:7]
	s_cbranch_execz .LBB20_91
; %bb.86:
	s_mov_b32 s18, 0x3c7fffff
	v_cmp_lt_u32_e32 vcc, s18, v4
                                        ; implicit-def: $vgpr1
	s_and_saveexec_b64 s[18:19], vcc
	s_xor_b64 s[18:19], exec, s[18:19]
; %bb.87:
	v_bfe_u32 v1, v0, 20, 1
	s_mov_b32 s22, 0x407ffff
	v_add3_u32 v1, v0, v1, s22
	v_lshrrev_b32_e32 v4, 20, v1
	v_and_b32_e32 v1, 0xff00000, v1
	s_mov_b32 s22, 0x7f00000
	v_mov_b32_e32 v5, 0x7e
	v_cmp_ne_u32_e32 vcc, s22, v1
	v_cndmask_b32_e32 v1, v5, v4, vcc
; %bb.88:
	s_andn2_saveexec_b64 s[18:19], s[18:19]
; %bb.89:
	s_mov_b32 s22, 0x46800000
	v_add_f32_e64 v1, |v0|, s22
; %bb.90:
	s_or_b64 exec, exec, s[18:19]
                                        ; implicit-def: $vgpr4
.LBB20_91:
	s_andn2_saveexec_b64 s[6:7], s[6:7]
; %bb.92:
	s_mov_b32 s18, 0x7f800000
	v_mov_b32_e32 v1, 0x7e
	v_mov_b32_e32 v5, 0x7f
	v_cmp_lt_u32_e32 vcc, s18, v4
	v_cndmask_b32_e32 v1, v1, v5, vcc
; %bb.93:
	s_or_b64 exec, exec, s[6:7]
	v_lshrrev_b32_e32 v4, 24, v0
	s_movk_i32 s6, 0x80
	v_and_or_b32 v1, v4, s6, v1
	global_store_byte v[2:3], v1, off
.LBB20_94:
	s_mov_b64 s[6:7], 0
.LBB20_95:
	s_andn2_b64 vcc, exec, s[6:7]
	s_cbranch_vccnz .LBB20_105
; %bb.96:
	v_and_b32_e32 v4, 0x7fffffff, v0
	s_mov_b32 s6, 0x47800000
	v_cmp_gt_u32_e32 vcc, s6, v4
                                        ; implicit-def: $vgpr1
	s_and_saveexec_b64 s[6:7], vcc
	s_xor_b64 s[6:7], exec, s[6:7]
	s_cbranch_execz .LBB20_102
; %bb.97:
	s_mov_b32 s18, 0x387fffff
	v_cmp_lt_u32_e32 vcc, s18, v4
                                        ; implicit-def: $vgpr1
	s_and_saveexec_b64 s[18:19], vcc
	s_xor_b64 s[18:19], exec, s[18:19]
; %bb.98:
	v_bfe_u32 v1, v0, 21, 1
	s_mov_b32 s22, 0x80fffff
	v_add3_u32 v1, v0, v1, s22
	v_lshrrev_b32_e32 v1, 21, v1
; %bb.99:
	s_andn2_saveexec_b64 s[18:19], s[18:19]
; %bb.100:
	s_mov_b32 s22, 0x43000000
	v_add_f32_e64 v1, |v0|, s22
; %bb.101:
	s_or_b64 exec, exec, s[18:19]
                                        ; implicit-def: $vgpr4
.LBB20_102:
	s_andn2_saveexec_b64 s[6:7], s[6:7]
; %bb.103:
	s_mov_b32 s18, 0x7f800000
	v_mov_b32_e32 v1, 0x7c
	v_mov_b32_e32 v5, 0x7f
	v_cmp_lt_u32_e32 vcc, s18, v4
	v_cndmask_b32_e32 v1, v1, v5, vcc
; %bb.104:
	s_or_b64 exec, exec, s[6:7]
	v_lshrrev_b32_e32 v4, 24, v0
	s_movk_i32 s6, 0x80
	v_and_or_b32 v1, v4, s6, v1
	global_store_byte v[2:3], v1, off
.LBB20_105:
	s_mov_b64 s[18:19], 0
	s_mov_b64 s[6:7], -1
.LBB20_106:
	s_andn2_b64 vcc, exec, s[18:19]
	s_cbranch_vccnz .LBB20_114
; %bb.107:
	v_mov_b32_e32 v1, 14
	v_cmp_gt_i16_sdwa s[22:23], v10, v1 src0_sel:BYTE_0 src1_sel:DWORD
	s_mov_b64 s[18:19], -1
	s_and_b64 vcc, exec, s[22:23]
	s_cbranch_vccz .LBB20_111
; %bb.108:
	v_mov_b32_e32 v1, 15
	v_cmp_eq_u16_sdwa s[18:19], v10, v1 src0_sel:BYTE_0 src1_sel:DWORD
	s_mov_b64 s[0:1], -1
	s_and_b64 vcc, exec, s[18:19]
	s_cbranch_vccz .LBB20_110
; %bb.109:
	v_bfe_u32 v1, v0, 16, 1
	s_movk_i32 s0, 0x7fff
	v_add3_u32 v1, v0, v1, s0
	v_lshrrev_b32_e32 v1, 16, v1
	v_mov_b32_e32 v4, 0x7fc0
	v_cmp_o_f32_e32 vcc, v0, v0
	v_cndmask_b32_e32 v1, v4, v1, vcc
	global_store_short v[2:3], v1, off
	s_mov_b64 s[6:7], -1
	s_mov_b64 s[0:1], 0
.LBB20_110:
	s_mov_b64 s[18:19], 0
.LBB20_111:
	s_and_b64 vcc, exec, s[18:19]
	s_cbranch_vccz .LBB20_114
; %bb.112:
	v_mov_b32_e32 v1, 11
	v_cmp_eq_u16_sdwa s[18:19], v10, v1 src0_sel:BYTE_0 src1_sel:DWORD
	s_mov_b64 s[0:1], -1
	s_and_b64 vcc, exec, s[18:19]
	s_cbranch_vccz .LBB20_114
; %bb.113:
	v_cmp_neq_f32_e32 vcc, 0, v0
	v_cndmask_b32_e64 v1, 0, 1, vcc
	s_mov_b64 s[6:7], -1
	s_mov_b64 s[0:1], 0
	global_store_byte v[2:3], v1, off
.LBB20_114:
	s_branch .LBB20_32
.LBB20_115:
	v_mov_b32_e32 v1, 5
	v_cmp_lt_i16_sdwa s[18:19], v10, v1 src0_sel:BYTE_0 src1_sel:DWORD
	s_mov_b64 s[6:7], -1
	s_and_b64 vcc, exec, s[18:19]
	s_cbranch_vccnz .LBB20_136
; %bb.116:
	v_mov_b32_e32 v1, 8
	v_cmp_lt_i16_sdwa s[18:19], v10, v1 src0_sel:BYTE_0 src1_sel:DWORD
	s_and_b64 vcc, exec, s[18:19]
	s_cbranch_vccnz .LBB20_126
; %bb.117:
	v_mov_b32_e32 v1, 9
	v_cmp_lt_i16_sdwa s[18:19], v10, v1 src0_sel:BYTE_0 src1_sel:DWORD
	s_and_b64 vcc, exec, s[18:19]
	s_cbranch_vccnz .LBB20_123
; %bb.118:
	v_cmp_gt_i16_sdwa s[18:19], v10, v1 src0_sel:BYTE_0 src1_sel:DWORD
	s_and_b64 vcc, exec, s[18:19]
	s_cbranch_vccz .LBB20_120
; %bb.119:
	v_mov_b32_e32 v6, 0
	v_cvt_f64_f32_e32 v[4:5], v0
	v_mov_b32_e32 v7, v6
	global_store_dwordx4 v[2:3], v[4:7], off
	s_mov_b64 s[6:7], 0
.LBB20_120:
	s_andn2_b64 vcc, exec, s[6:7]
	s_cbranch_vccnz .LBB20_122
; %bb.121:
	v_mov_b32_e32 v1, 0
	global_store_dwordx2 v[2:3], v[0:1], off
.LBB20_122:
	s_mov_b64 s[6:7], 0
.LBB20_123:
	s_andn2_b64 vcc, exec, s[6:7]
	s_cbranch_vccnz .LBB20_125
; %bb.124:
	v_cvt_f16_f32_e32 v1, v0
	global_store_dword v[2:3], v1, off
.LBB20_125:
	s_mov_b64 s[6:7], 0
.LBB20_126:
	s_andn2_b64 vcc, exec, s[6:7]
	s_cbranch_vccnz .LBB20_135
; %bb.127:
	v_mov_b32_e32 v1, 6
	v_cmp_lt_i16_sdwa s[18:19], v10, v1 src0_sel:BYTE_0 src1_sel:DWORD
	s_mov_b64 s[6:7], -1
	s_and_b64 vcc, exec, s[18:19]
	s_cbranch_vccnz .LBB20_133
; %bb.128:
	v_cmp_gt_i16_sdwa s[18:19], v10, v1 src0_sel:BYTE_0 src1_sel:DWORD
	s_and_b64 vcc, exec, s[18:19]
	s_cbranch_vccz .LBB20_130
; %bb.129:
	v_cvt_f64_f32_e32 v[4:5], v0
	global_store_dwordx2 v[2:3], v[4:5], off
	s_mov_b64 s[6:7], 0
.LBB20_130:
	s_andn2_b64 vcc, exec, s[6:7]
	s_cbranch_vccnz .LBB20_132
; %bb.131:
	global_store_dword v[2:3], v0, off
.LBB20_132:
	s_mov_b64 s[6:7], 0
.LBB20_133:
	s_andn2_b64 vcc, exec, s[6:7]
	s_cbranch_vccnz .LBB20_135
; %bb.134:
	v_cvt_f16_f32_e32 v1, v0
	global_store_short v[2:3], v1, off
.LBB20_135:
	s_mov_b64 s[6:7], 0
.LBB20_136:
	s_andn2_b64 vcc, exec, s[6:7]
	s_cbranch_vccnz .LBB20_152
; %bb.137:
	v_mov_b32_e32 v1, 2
	v_cmp_lt_i16_sdwa s[18:19], v10, v1 src0_sel:BYTE_0 src1_sel:DWORD
	s_mov_b64 s[6:7], -1
	s_and_b64 vcc, exec, s[18:19]
	s_cbranch_vccnz .LBB20_147
; %bb.138:
	v_mov_b32_e32 v1, 3
	v_cmp_lt_i16_sdwa s[18:19], v10, v1 src0_sel:BYTE_0 src1_sel:DWORD
	s_and_b64 vcc, exec, s[18:19]
	s_cbranch_vccnz .LBB20_144
; %bb.139:
	v_cmp_gt_i16_sdwa s[18:19], v10, v1 src0_sel:BYTE_0 src1_sel:DWORD
	s_and_b64 vcc, exec, s[18:19]
	s_cbranch_vccz .LBB20_141
; %bb.140:
	v_trunc_f32_e32 v1, v0
	s_mov_b32 s6, 0x2f800000
	v_mul_f32_e64 v4, |v1|, s6
	v_floor_f32_e32 v4, v4
	s_mov_b32 s6, 0xcf800000
	v_cvt_u32_f32_e32 v5, v4
	v_fma_f32 v4, v4, s6, |v1|
	v_cvt_u32_f32_e32 v4, v4
	v_ashrrev_i32_e32 v1, 31, v1
	v_xor_b32_e32 v5, v5, v1
	s_mov_b64 s[6:7], 0
	v_xor_b32_e32 v4, v4, v1
	v_sub_co_u32_e32 v4, vcc, v4, v1
	v_subb_co_u32_e32 v5, vcc, v5, v1, vcc
	global_store_dwordx2 v[2:3], v[4:5], off
.LBB20_141:
	s_andn2_b64 vcc, exec, s[6:7]
	s_cbranch_vccnz .LBB20_143
; %bb.142:
	v_cvt_i32_f32_e32 v1, v0
	global_store_dword v[2:3], v1, off
.LBB20_143:
	s_mov_b64 s[6:7], 0
.LBB20_144:
	s_andn2_b64 vcc, exec, s[6:7]
	s_cbranch_vccnz .LBB20_146
; %bb.145:
	v_cvt_i32_f32_e32 v1, v0
	global_store_short v[2:3], v1, off
.LBB20_146:
	s_mov_b64 s[6:7], 0
.LBB20_147:
	s_andn2_b64 vcc, exec, s[6:7]
	s_cbranch_vccnz .LBB20_152
; %bb.148:
	v_mov_b32_e32 v1, 0
	v_cmp_gt_i16_sdwa s[18:19], v10, v1 src0_sel:BYTE_0 src1_sel:DWORD
	s_mov_b64 s[6:7], -1
	s_and_b64 vcc, exec, s[18:19]
	s_cbranch_vccz .LBB20_150
; %bb.149:
	v_cvt_i32_f32_e32 v1, v0
	s_mov_b64 s[6:7], 0
	global_store_byte v[2:3], v1, off
.LBB20_150:
	s_andn2_b64 vcc, exec, s[6:7]
	s_cbranch_vccnz .LBB20_152
; %bb.151:
	v_trunc_f32_e32 v0, v0
	s_mov_b32 s6, 0x2f800000
	v_mul_f32_e64 v1, |v0|, s6
	v_floor_f32_e32 v1, v1
	s_mov_b32 s6, 0xcf800000
	v_fma_f32 v1, v1, s6, |v0|
	v_cvt_u32_f32_e32 v1, v1
	v_ashrrev_i32_e32 v0, 31, v0
	v_xor_b32_e32 v1, v1, v0
	v_sub_u32_e32 v0, v1, v0
	global_store_byte v[2:3], v0, off
.LBB20_152:
	s_branch .LBB20_33
.LBB20_153:
	s_mov_b64 s[18:19], 0
                                        ; implicit-def: $vgpr8
	s_branch .LBB20_263
.LBB20_154:
	s_mov_b64 s[14:15], -1
                                        ; implicit-def: $vgpr2
.LBB20_155:
	s_mov_b64 s[6:7], 0
.LBB20_156:
	s_and_b64 vcc, exec, s[6:7]
	s_cbranch_vccz .LBB20_160
; %bb.157:
	v_cmp_eq_u16_e32 vcc, 29, v9
	s_cbranch_vccz .LBB20_159
; %bb.158:
	global_load_dwordx2 v[2:3], v[0:1], off
	s_mov_b64 s[0:1], -1
	s_mov_b64 s[14:15], 0
	s_mov_b64 s[6:7], 0
	s_waitcnt vmcnt(0)
	v_ffbh_u32_e32 v4, v3
	v_min_u32_e32 v4, 32, v4
	v_lshlrev_b64 v[2:3], v4, v[2:3]
	v_min_u32_e32 v2, 1, v2
	v_or_b32_e32 v2, v3, v2
	v_cvt_f32_u32_e32 v2, v2
	v_sub_u32_e32 v3, 32, v4
	v_ldexp_f32 v2, v2, v3
	s_branch .LBB20_161
.LBB20_159:
	s_mov_b64 s[14:15], -1
                                        ; implicit-def: $vgpr2
.LBB20_160:
	s_mov_b64 s[6:7], 0
.LBB20_161:
	s_and_b64 vcc, exec, s[6:7]
	s_cbranch_vccz .LBB20_179
; %bb.162:
	v_cmp_gt_i16_e32 vcc, 27, v9
	s_cbranch_vccnz .LBB20_165
; %bb.163:
	v_cmp_lt_i16_e32 vcc, 27, v9
	s_cbranch_vccz .LBB20_166
; %bb.164:
	global_load_dword v2, v[0:1], off
	s_mov_b64 s[0:1], 0
	s_waitcnt vmcnt(0)
	v_cvt_f32_u32_e32 v2, v2
	s_branch .LBB20_167
.LBB20_165:
	s_mov_b64 s[0:1], -1
                                        ; implicit-def: $vgpr2
	s_branch .LBB20_170
.LBB20_166:
	s_mov_b64 s[0:1], -1
                                        ; implicit-def: $vgpr2
.LBB20_167:
	s_andn2_b64 vcc, exec, s[0:1]
	s_cbranch_vccnz .LBB20_169
; %bb.168:
	global_load_ushort v2, v[0:1], off
	s_waitcnt vmcnt(0)
	v_cvt_f32_u32_e32 v2, v2
.LBB20_169:
	s_mov_b64 s[0:1], 0
.LBB20_170:
	s_andn2_b64 vcc, exec, s[0:1]
	s_cbranch_vccnz .LBB20_178
; %bb.171:
	global_load_ubyte v3, v[0:1], off
	s_movk_i32 s0, 0x7f
                                        ; implicit-def: $sgpr22
	s_waitcnt vmcnt(0)
	v_cmp_lt_i16_e32 vcc, s0, v3
	s_mov_b64 s[0:1], 0
	s_and_saveexec_b64 s[6:7], vcc
	s_xor_b64 s[6:7], exec, s[6:7]
	s_cbranch_execz .LBB20_191
; %bb.172:
	s_movk_i32 s0, 0x80
	v_cmp_eq_u16_e32 vcc, s0, v3
	s_mov_b64 s[0:1], -1
                                        ; implicit-def: $sgpr22
	s_and_saveexec_b64 s[18:19], vcc
; %bb.173:
	s_mov_b32 s22, 0x7f800001
	s_xor_b64 s[0:1], exec, -1
; %bb.174:
	s_or_b64 exec, exec, s[18:19]
	s_and_b64 s[0:1], s[0:1], exec
	s_or_saveexec_b64 s[6:7], s[6:7]
	v_mov_b32_e32 v2, s22
	s_xor_b64 exec, exec, s[6:7]
	s_cbranch_execnz .LBB20_192
.LBB20_175:
	s_or_b64 exec, exec, s[6:7]
	s_and_saveexec_b64 s[6:7], s[0:1]
	s_cbranch_execz .LBB20_177
.LBB20_176:
	v_lshlrev_b32_e32 v2, 24, v3
	v_and_b32_e32 v3, 0xffff, v3
	v_and_b32_e32 v4, 7, v3
	v_ffbh_u32_e32 v6, v4
	v_min_u32_e32 v6, 32, v6
	v_subrev_u32_e32 v7, 28, v6
	v_bfe_u32 v5, v3, 3, 4
	v_lshlrev_b32_e32 v3, v7, v3
	v_sub_u32_e32 v6, 29, v6
	v_and_b32_e32 v3, 7, v3
	v_cmp_eq_u32_e32 vcc, 0, v5
	v_cndmask_b32_e32 v5, v5, v6, vcc
	v_cndmask_b32_e32 v3, v4, v3, vcc
	v_mov_b32_e32 v4, 0x3b800000
	v_lshlrev_b32_e32 v3, 20, v3
	v_and_b32_e32 v2, 0x80000000, v2
	v_lshl_add_u32 v4, v5, 23, v4
	v_or3_b32 v2, v2, v4, v3
.LBB20_177:
	s_or_b64 exec, exec, s[6:7]
.LBB20_178:
	s_mov_b64 s[0:1], -1
.LBB20_179:
	s_branch .LBB20_214
.LBB20_180:
	v_cmp_lt_i16_e32 vcc, 22, v9
	s_cbranch_vccz .LBB20_190
; %bb.181:
	v_cmp_gt_i16_e32 vcc, 24, v9
	s_cbranch_vccnz .LBB20_193
; %bb.182:
	v_cmp_lt_i16_e32 vcc, 24, v9
	s_cbranch_vccz .LBB20_194
; %bb.183:
	global_load_ubyte v3, v[0:1], off
	s_movk_i32 s0, 0x7f
                                        ; implicit-def: $sgpr22
	s_waitcnt vmcnt(0)
	v_cmp_lt_i16_e32 vcc, s0, v3
	s_mov_b64 s[0:1], 0
	s_and_saveexec_b64 s[6:7], vcc
	s_xor_b64 s[6:7], exec, s[6:7]
	s_cbranch_execz .LBB20_206
; %bb.184:
	s_movk_i32 s0, 0x80
	v_cmp_eq_u16_e32 vcc, s0, v3
	s_mov_b64 s[0:1], -1
                                        ; implicit-def: $sgpr22
	s_and_saveexec_b64 s[18:19], vcc
; %bb.185:
	s_mov_b32 s22, 0x7f800001
	s_xor_b64 s[0:1], exec, -1
; %bb.186:
	s_or_b64 exec, exec, s[18:19]
	s_and_b64 s[0:1], s[0:1], exec
	s_or_saveexec_b64 s[6:7], s[6:7]
	v_mov_b32_e32 v2, s22
	s_xor_b64 exec, exec, s[6:7]
	s_cbranch_execnz .LBB20_207
.LBB20_187:
	s_or_b64 exec, exec, s[6:7]
	s_and_saveexec_b64 s[6:7], s[0:1]
	s_cbranch_execz .LBB20_189
.LBB20_188:
	v_lshlrev_b32_e32 v2, 24, v3
	v_and_b32_e32 v3, 0xffff, v3
	v_and_b32_e32 v4, 3, v3
	v_ffbh_u32_e32 v6, v4
	v_min_u32_e32 v6, 32, v6
	v_subrev_u32_e32 v7, 29, v6
	v_bfe_u32 v5, v3, 2, 5
	v_lshlrev_b32_e32 v3, v7, v3
	v_sub_u32_e32 v6, 30, v6
	v_and_b32_e32 v3, 3, v3
	v_cmp_eq_u32_e32 vcc, 0, v5
	v_cndmask_b32_e32 v5, v5, v6, vcc
	v_cndmask_b32_e32 v3, v4, v3, vcc
	v_mov_b32_e32 v4, 0x37800000
	v_lshlrev_b32_e32 v3, 21, v3
	v_and_b32_e32 v2, 0x80000000, v2
	v_lshl_add_u32 v4, v5, 23, v4
	v_or3_b32 v2, v2, v4, v3
.LBB20_189:
	s_or_b64 exec, exec, s[6:7]
	s_mov_b64 s[0:1], 0
	s_branch .LBB20_195
.LBB20_190:
	s_mov_b64 s[6:7], -1
                                        ; implicit-def: $vgpr2
	s_branch .LBB20_201
.LBB20_191:
	s_or_saveexec_b64 s[6:7], s[6:7]
	v_mov_b32_e32 v2, s22
	s_xor_b64 exec, exec, s[6:7]
	s_cbranch_execz .LBB20_175
.LBB20_192:
	v_cmp_ne_u16_e32 vcc, 0, v3
	s_andn2_b64 s[0:1], s[0:1], exec
	s_and_b64 s[18:19], vcc, exec
	v_mov_b32_e32 v2, 0
	s_or_b64 s[0:1], s[0:1], s[18:19]
	s_or_b64 exec, exec, s[6:7]
	s_and_saveexec_b64 s[6:7], s[0:1]
	s_cbranch_execnz .LBB20_176
	s_branch .LBB20_177
.LBB20_193:
	s_mov_b64 s[0:1], -1
                                        ; implicit-def: $vgpr2
	s_branch .LBB20_198
.LBB20_194:
	s_mov_b64 s[0:1], -1
                                        ; implicit-def: $vgpr2
.LBB20_195:
	s_and_b64 vcc, exec, s[0:1]
	s_cbranch_vccz .LBB20_197
; %bb.196:
	global_load_ubyte v2, v[0:1], off
	s_mov_b32 s0, 0x7f800000
	s_waitcnt vmcnt(0)
	v_lshlrev_b32_e32 v2, 24, v2
	v_and_b32_e32 v3, 0x7f000000, v2
	v_ffbh_u32_e32 v4, v3
	v_min_u32_e32 v4, 32, v4
	v_sub_u32_e64 v4, v4, 4 clamp
	v_lshlrev_b32_e32 v6, v4, v3
	v_lshlrev_b32_e32 v4, 23, v4
	v_lshrrev_b32_e32 v6, 4, v6
	v_add_u32_e32 v5, 0x1000000, v3
	v_sub_u32_e32 v4, v6, v4
	v_ashrrev_i32_e32 v5, 8, v5
	v_add_u32_e32 v4, 0x3c000000, v4
	v_and_or_b32 v4, v5, s0, v4
	v_cmp_ne_u32_e32 vcc, 0, v3
	v_cndmask_b32_e32 v3, 0, v4, vcc
	s_brev_b32 s0, 1
	v_and_or_b32 v2, v2, s0, v3
.LBB20_197:
	s_mov_b64 s[0:1], 0
.LBB20_198:
	s_andn2_b64 vcc, exec, s[0:1]
	s_cbranch_vccnz .LBB20_200
; %bb.199:
	global_load_ubyte v2, v[0:1], off
	s_movk_i32 s0, 0x7f00
	s_brev_b32 s1, 16
	s_waitcnt vmcnt(0)
	v_lshlrev_b16_e32 v3, 8, v2
	v_lshlrev_b32_e32 v2, 25, v2
	v_lshrrev_b32_e32 v4, 4, v2
	v_and_or_b32 v5, v3, s0, 0.5
	v_or_b32_e32 v4, 0x70000000, v4
	v_add_f32_e32 v5, -0.5, v5
	v_mul_f32_e32 v4, 0x7800000, v4
	v_cmp_gt_u32_e32 vcc, s1, v2
	v_bfe_i32 v3, v3, 0, 16
	v_cndmask_b32_e32 v2, v4, v5, vcc
	s_brev_b32 s0, 1
	v_and_or_b32 v2, v3, s0, v2
.LBB20_200:
	s_mov_b64 s[6:7], 0
	s_mov_b64 s[0:1], -1
.LBB20_201:
	s_andn2_b64 vcc, exec, s[6:7]
	s_cbranch_vccnz .LBB20_214
; %bb.202:
	v_cmp_lt_i16_e32 vcc, 14, v9
	s_cbranch_vccz .LBB20_205
; %bb.203:
	v_cmp_eq_u16_e32 vcc, 15, v9
	s_cbranch_vccz .LBB20_208
; %bb.204:
	global_load_ushort v2, v[0:1], off
	s_mov_b64 s[0:1], -1
	s_mov_b64 s[14:15], 0
	s_waitcnt vmcnt(0)
	v_lshlrev_b32_e32 v2, 16, v2
	s_branch .LBB20_209
.LBB20_205:
	s_mov_b64 s[6:7], -1
                                        ; implicit-def: $vgpr2
	s_branch .LBB20_210
.LBB20_206:
	s_or_saveexec_b64 s[6:7], s[6:7]
	v_mov_b32_e32 v2, s22
	s_xor_b64 exec, exec, s[6:7]
	s_cbranch_execz .LBB20_187
.LBB20_207:
	v_cmp_ne_u16_e32 vcc, 0, v3
	s_andn2_b64 s[0:1], s[0:1], exec
	s_and_b64 s[18:19], vcc, exec
	v_mov_b32_e32 v2, 0
	s_or_b64 s[0:1], s[0:1], s[18:19]
	s_or_b64 exec, exec, s[6:7]
	s_and_saveexec_b64 s[6:7], s[0:1]
	s_cbranch_execnz .LBB20_188
	s_branch .LBB20_189
.LBB20_208:
	s_mov_b64 s[14:15], -1
                                        ; implicit-def: $vgpr2
.LBB20_209:
	s_mov_b64 s[6:7], 0
.LBB20_210:
	s_and_b64 vcc, exec, s[6:7]
	s_cbranch_vccz .LBB20_214
; %bb.211:
	v_cmp_eq_u16_e32 vcc, 11, v9
	s_cbranch_vccz .LBB20_213
; %bb.212:
	global_load_ubyte v2, v[0:1], off
	s_mov_b64 s[0:1], -1
	s_mov_b64 s[14:15], 0
	s_waitcnt vmcnt(0)
	v_cmp_ne_u16_e32 vcc, 0, v2
	v_cndmask_b32_e64 v2, 0, 1.0, vcc
	s_branch .LBB20_214
.LBB20_213:
	s_mov_b64 s[14:15], -1
                                        ; implicit-def: $vgpr2
.LBB20_214:
	s_branch .LBB20_10
.LBB20_215:
	v_cmp_gt_i16_e32 vcc, 5, v9
	s_cbranch_vccnz .LBB20_220
; %bb.216:
	v_cmp_gt_i16_e32 vcc, 8, v9
	s_cbranch_vccnz .LBB20_221
; %bb.217:
	;; [unrolled: 3-line block ×3, first 2 shown]
	v_cmp_lt_i16_e32 vcc, 9, v9
	s_cbranch_vccz .LBB20_223
; %bb.219:
	global_load_dwordx2 v[2:3], v[0:1], off
	s_mov_b64 s[0:1], 0
	s_waitcnt vmcnt(0)
	v_cvt_f32_f64_e32 v2, v[2:3]
	s_branch .LBB20_224
.LBB20_220:
                                        ; implicit-def: $vgpr2
	s_branch .LBB20_242
.LBB20_221:
	s_mov_b64 s[0:1], -1
                                        ; implicit-def: $vgpr2
	s_branch .LBB20_230
.LBB20_222:
	s_mov_b64 s[0:1], -1
                                        ; implicit-def: $vgpr2
	s_branch .LBB20_227
.LBB20_223:
	s_mov_b64 s[0:1], -1
                                        ; implicit-def: $vgpr2
.LBB20_224:
	s_andn2_b64 vcc, exec, s[0:1]
	s_cbranch_vccnz .LBB20_226
; %bb.225:
	global_load_dword v2, v[0:1], off
.LBB20_226:
	s_mov_b64 s[0:1], 0
.LBB20_227:
	s_andn2_b64 vcc, exec, s[0:1]
	s_cbranch_vccnz .LBB20_229
; %bb.228:
	global_load_dword v2, v[0:1], off
	s_waitcnt vmcnt(0)
	v_cvt_f32_f16_e32 v2, v2
.LBB20_229:
	s_mov_b64 s[0:1], 0
.LBB20_230:
	s_andn2_b64 vcc, exec, s[0:1]
	s_cbranch_vccnz .LBB20_241
; %bb.231:
	v_cmp_gt_i16_e32 vcc, 6, v9
	s_cbranch_vccnz .LBB20_234
; %bb.232:
	v_cmp_lt_i16_e32 vcc, 6, v9
	s_cbranch_vccz .LBB20_235
; %bb.233:
	global_load_dwordx2 v[2:3], v[0:1], off
	s_mov_b64 s[0:1], 0
	s_waitcnt vmcnt(0)
	v_cvt_f32_f64_e32 v2, v[2:3]
	s_branch .LBB20_236
.LBB20_234:
	s_mov_b64 s[0:1], -1
                                        ; implicit-def: $vgpr2
	s_branch .LBB20_239
.LBB20_235:
	s_mov_b64 s[0:1], -1
                                        ; implicit-def: $vgpr2
.LBB20_236:
	s_andn2_b64 vcc, exec, s[0:1]
	s_cbranch_vccnz .LBB20_238
; %bb.237:
	global_load_dword v2, v[0:1], off
.LBB20_238:
	s_mov_b64 s[0:1], 0
.LBB20_239:
	s_andn2_b64 vcc, exec, s[0:1]
	s_cbranch_vccnz .LBB20_241
; %bb.240:
	global_load_ushort v2, v[0:1], off
	s_waitcnt vmcnt(0)
	v_cvt_f32_f16_e32 v2, v2
.LBB20_241:
	s_cbranch_execnz .LBB20_261
.LBB20_242:
	v_cmp_gt_i16_e32 vcc, 2, v9
	s_cbranch_vccnz .LBB20_246
; %bb.243:
	v_cmp_gt_i16_e32 vcc, 3, v9
	s_cbranch_vccnz .LBB20_247
; %bb.244:
	v_cmp_lt_i16_e32 vcc, 3, v9
	s_cbranch_vccz .LBB20_248
; %bb.245:
	global_load_dwordx2 v[2:3], v[0:1], off
	s_mov_b64 s[0:1], 0
	s_waitcnt vmcnt(0)
	v_xor_b32_e32 v5, v2, v3
	v_ffbh_i32_e32 v4, v3
	v_ashrrev_i32_e32 v5, 31, v5
	v_add_u32_e32 v4, -1, v4
	v_add_u32_e32 v5, 32, v5
	v_min_u32_e32 v4, v4, v5
	v_lshlrev_b64 v[2:3], v4, v[2:3]
	v_min_u32_e32 v2, 1, v2
	v_or_b32_e32 v2, v3, v2
	v_cvt_f32_i32_e32 v2, v2
	v_sub_u32_e32 v3, 32, v4
	v_ldexp_f32 v2, v2, v3
	s_branch .LBB20_249
.LBB20_246:
	s_mov_b64 s[0:1], -1
                                        ; implicit-def: $vgpr2
	s_branch .LBB20_255
.LBB20_247:
	s_mov_b64 s[0:1], -1
                                        ; implicit-def: $vgpr2
	s_branch .LBB20_252
.LBB20_248:
	s_mov_b64 s[0:1], -1
                                        ; implicit-def: $vgpr2
.LBB20_249:
	s_andn2_b64 vcc, exec, s[0:1]
	s_cbranch_vccnz .LBB20_251
; %bb.250:
	global_load_dword v2, v[0:1], off
	s_waitcnt vmcnt(0)
	v_cvt_f32_i32_e32 v2, v2
.LBB20_251:
	s_mov_b64 s[0:1], 0
.LBB20_252:
	s_andn2_b64 vcc, exec, s[0:1]
	s_cbranch_vccnz .LBB20_254
; %bb.253:
	global_load_sshort v2, v[0:1], off
	s_waitcnt vmcnt(0)
	v_cvt_f32_i32_e32 v2, v2
.LBB20_254:
	s_mov_b64 s[0:1], 0
.LBB20_255:
	s_andn2_b64 vcc, exec, s[0:1]
	s_cbranch_vccnz .LBB20_261
; %bb.256:
	v_cmp_lt_i16_e32 vcc, 0, v9
	s_cbranch_vccz .LBB20_258
; %bb.257:
	global_load_sbyte v2, v[0:1], off
	s_mov_b64 s[0:1], 0
	s_waitcnt vmcnt(0)
	v_cvt_f32_i32_e32 v2, v2
	s_branch .LBB20_259
.LBB20_258:
	s_mov_b64 s[0:1], -1
                                        ; implicit-def: $vgpr2
.LBB20_259:
	s_andn2_b64 vcc, exec, s[0:1]
	s_cbranch_vccnz .LBB20_261
; %bb.260:
	global_load_ubyte v0, v[0:1], off
	s_waitcnt vmcnt(0)
	v_cvt_f32_ubyte0_e32 v2, v0
.LBB20_261:
	s_branch .LBB20_11
.LBB20_262:
	s_mov_b64 s[0:1], 0
                                        ; implicit-def: $vgpr8
	s_mov_b64 s[18:19], 0
.LBB20_263:
	s_and_b64 s[6:7], s[0:1], exec
	s_and_b64 s[14:15], s[14:15], exec
	s_orn2_b64 s[18:19], s[18:19], exec
.LBB20_264:
	s_or_b64 exec, exec, s[16:17]
	s_mov_b64 s[22:23], 0
	s_mov_b64 s[0:1], 0
                                        ; implicit-def: $vgpr0_vgpr1
                                        ; implicit-def: $vgpr4
	s_and_saveexec_b64 s[16:17], s[18:19]
	s_cbranch_execz .LBB20_273
; %bb.265:
	v_cmp_gt_i32_e32 vcc, s33, v8
	s_mov_b64 s[0:1], -1
	s_mov_b64 s[18:19], s[14:15]
	s_mov_b64 s[20:21], s[6:7]
	s_and_saveexec_b64 s[22:23], vcc
	s_cbranch_execz .LBB20_537
; %bb.266:
	v_mul_lo_u32 v0, v8, s13
	v_ashrrev_i32_e32 v1, 31, v0
	s_waitcnt vmcnt(0)
	v_mov_b32_e32 v2, s11
	v_add_co_u32_e32 v0, vcc, s10, v0
	v_addc_co_u32_e32 v1, vcc, v2, v1, vcc
	v_cmp_gt_i16_e32 vcc, 11, v9
	s_cbranch_vccnz .LBB20_276
; %bb.267:
	v_cmp_lt_i16_e32 vcc, 25, v9
	s_cbranch_vccz .LBB20_297
; %bb.268:
	v_cmp_lt_i16_e32 vcc, 28, v9
	s_cbranch_vccz .LBB20_299
	;; [unrolled: 3-line block ×4, first 2 shown]
; %bb.271:
	v_cmp_eq_u16_e32 vcc, 46, v9
	s_mov_b64 s[20:21], 0
	s_cbranch_vccz .LBB20_309
; %bb.272:
	global_load_dword v2, v[0:1], off
	s_mov_b64 s[18:19], 0
	s_waitcnt vmcnt(0)
	v_lshlrev_b32_e32 v2, 16, v2
	s_branch .LBB20_310
.LBB20_273:
	s_or_b64 exec, exec, s[16:17]
	s_mov_b64 s[16:17], 0
	s_and_saveexec_b64 s[18:19], s[14:15]
	s_cbranch_execnz .LBB20_895
.LBB20_274:
	s_or_b64 exec, exec, s[18:19]
	s_and_saveexec_b64 s[14:15], s[20:21]
	s_xor_b64 s[14:15], exec, s[14:15]
	s_cbranch_execz .LBB20_896
.LBB20_275:
	global_load_ubyte v2, v[0:1], off
	s_or_b64 s[0:1], s[0:1], exec
	s_waitcnt vmcnt(0)
	v_cmp_ne_u16_e32 vcc, 0, v2
	v_cndmask_b32_e64 v4, 0, 1.0, vcc
	s_or_b64 exec, exec, s[14:15]
	s_and_saveexec_b64 s[14:15], s[22:23]
	s_cbranch_execz .LBB20_942
	s_branch .LBB20_897
.LBB20_276:
	s_mov_b64 s[0:1], 0
                                        ; implicit-def: $vgpr2
	s_mov_b64 s[18:19], s[14:15]
	s_cbranch_execnz .LBB20_487
.LBB20_277:
	s_andn2_b64 vcc, exec, s[0:1]
	s_cbranch_vccnz .LBB20_535
.LBB20_278:
	s_waitcnt vmcnt(0)
	v_cmp_neq_f32_e32 vcc, 0, v2
	v_mov_b32_e32 v0, 0x7f800000
	s_and_saveexec_b64 s[20:21], vcc
	s_cbranch_execz .LBB20_290
; %bb.279:
	v_cmp_ngt_f32_e32 vcc, 0, v2
	v_mov_b32_e32 v0, 0x7fc00000
	s_and_saveexec_b64 s[24:25], vcc
	s_cbranch_execz .LBB20_289
; %bb.280:
	v_cmp_ge_f32_e32 vcc, 2.0, v2
                                        ; implicit-def: $vgpr0
	s_and_saveexec_b64 s[0:1], vcc
	s_xor_b64 s[26:27], exec, s[0:1]
	s_cbranch_execz .LBB20_286
; %bb.281:
	s_mov_b32 s0, 0x41000000
	v_mul_f32_e32 v0, 0.5, v2
	v_cmp_ge_f32_e32 vcc, s0, v2
                                        ; implicit-def: $vgpr3
                                        ; implicit-def: $vgpr1
	s_and_saveexec_b64 s[0:1], vcc
	s_xor_b64 s[0:1], exec, s[0:1]
	s_cbranch_execz .LBB20_283
; %bb.282:
	v_add_f32_e32 v1, -2.0, v0
	v_mov_b32_e32 v3, 0x24199b15
	v_fmac_f32_e32 v3, 0xa2a2e5b9, v1
	v_mov_b32_e32 v4, 0x22a2e5b9
	v_fmac_f32_e32 v4, v1, v3
	v_add_f32_e32 v4, 0xa58c275c, v4
	v_fma_f32 v3, v1, v4, -v3
	v_add_f32_e32 v3, 0x26f736c5, v3
	v_fma_f32 v4, v1, v3, -v4
	v_add_f32_e32 v4, 0xa8528116, v4
	v_fma_f32 v3, v1, v4, -v3
	v_add_f32_e32 v3, 0x29acda32, v3
	v_fma_f32 v4, v1, v3, -v4
	v_add_f32_e32 v4, 0xab08b263, v4
	v_fma_f32 v3, v1, v4, -v3
	v_add_f32_e32 v3, 0x2c4ff17f, v3
	v_fma_f32 v4, v1, v3, -v4
	v_add_f32_e32 v4, 0xad97e4ac, v4
	v_fma_f32 v3, v1, v4, -v3
	v_add_f32_e32 v3, 0x2ed4c5f6, v3
	v_fma_f32 v4, v1, v3, -v4
	v_add_f32_e32 v4, 0xb00ea7f1, v4
	v_fma_f32 v3, v1, v4, -v3
	v_add_f32_e32 v3, 0x3136c81d, v3
	v_fma_f32 v4, v1, v3, -v4
	v_add_f32_e32 v4, 0xb25f57b4, v4
	v_fma_f32 v3, v1, v4, -v3
	v_add_f32_e32 v3, 0x3381dbb5, v3
	v_fma_f32 v4, v1, v3, -v4
	v_add_f32_e32 v4, 0xb48f631c, v4
	v_fma_f32 v3, v1, v4, -v3
	v_add_f32_e32 v3, 0x3595f925, v3
	v_fma_f32 v4, v1, v3, -v4
	v_add_f32_e32 v4, 0xb694337e, v4
	v_fma_f32 v3, v1, v4, -v3
	v_add_f32_e32 v3, 0x3789fac6, v3
	v_fma_f32 v4, v1, v3, -v4
	v_add_f32_e32 v4, 0xb8715933, v4
	v_fma_f32 v3, v1, v4, -v3
	v_add_f32_e32 v3, 0x3945a8dc, v3
	v_fma_f32 v4, v1, v3, -v4
	v_add_f32_e32 v4, 0xba1717e9, v4
	v_fma_f32 v3, v1, v4, -v3
	v_add_f32_e32 v3, 0x3ad6e3ac, v3
	v_fma_f32 v4, v1, v3, -v4
	v_add_f32_e32 v4, 0xbb8db2f1, v4
	v_fma_f32 v3, v1, v4, -v3
	v_add_f32_e32 v3, 0x3c2ccb10, v3
	v_fma_f32 v4, v1, v3, -v4
	v_add_f32_e32 v4, 0xbcc274f8, v4
	v_fma_f32 v3, v1, v4, -v3
	v_mul_f32_e32 v5, 0x3fb8aa3b, v2
	v_add_f32_e32 v3, 0x3d49f456, v3
	s_mov_b32 s28, 0x3fb8aa3b
	v_rndne_f32_e32 v6, v5
	v_fma_f32 v4, v1, v3, -v4
	v_sub_f32_e32 v7, v5, v6
	v_fma_f32 v5, v2, s28, -v5
	v_add_f32_e32 v4, 0xbdc25b82, v4
	v_fmac_f32_e32 v5, 0x32a5705f, v2
	v_fma_f32 v3, v1, v4, -v3
	v_add_f32_e32 v5, v7, v5
	v_add_f32_e32 v3, 0x3e2fbd64, v3
	v_exp_f32_e32 v5, v5
	v_cvt_i32_f32_e32 v6, v6
	v_fma_f32 v4, v1, v3, -v4
	v_add_f32_e32 v4, 0xbe9bff5e, v4
	v_fma_f32 v1, v1, v4, -v3
	s_mov_b32 s28, 0xc2ce8ed0
	v_add_f32_e32 v4, 0x3f2d4275, v1
	v_ldexp_f32 v1, v5, v6
	v_cmp_ngt_f32_e32 vcc, s28, v2
	s_mov_b32 s28, 0x42b17218
	v_cndmask_b32_e32 v1, 0, v1, vcc
	v_mov_b32_e32 v5, 0x7f800000
	v_cmp_nlt_f32_e32 vcc, s28, v2
	v_sub_f32_e32 v3, v4, v3
	v_cndmask_b32_e32 v1, v5, v1, vcc
	v_mul_f32_e32 v3, 0.5, v3
	v_mul_f32_e32 v3, v1, v3
.LBB20_283:
	s_andn2_saveexec_b64 s[28:29], s[0:1]
	s_cbranch_execz .LBB20_285
; %bb.284:
	s_mov_b32 s30, 0x42000000
	v_div_scale_f32 v1, s[0:1], v2, v2, s30
	v_rcp_f32_e32 v3, v1
	v_div_scale_f32 v4, vcc, s30, v2, s30
	s_mov_b32 s0, 0x3fb8aa3b
	v_fma_f32 v5, -v1, v3, 1.0
	v_fmac_f32_e32 v3, v5, v3
	v_mul_f32_e32 v5, v4, v3
	v_fma_f32 v6, -v1, v5, v4
	v_fmac_f32_e32 v5, v6, v3
	v_fma_f32 v1, -v1, v5, v4
	v_div_fmas_f32 v1, v1, v3, v5
	v_div_fixup_f32 v1, v1, v2, s30
	v_add_f32_e32 v1, -2.0, v1
	v_mov_b32_e32 v3, 0xa2b236d3
	v_fmac_f32_e32 v3, 0xa3056dbb, v1
	v_mov_b32_e32 v4, 0x23056dbb
	v_fmac_f32_e32 v4, v1, v3
	v_add_f32_e32 v4, 0x244df0c1, v4
	v_fma_f32 v3, v1, v4, -v3
	v_add_f32_e32 v3, 0x241f9ee8, v3
	v_fma_f32 v4, v1, v3, -v4
	;; [unrolled: 2-line block ×18, first 2 shown]
	v_mul_f32_e32 v5, 0x3fb8aa3b, v2
	v_add_f32_e32 v4, 0x345c003f, v4
	v_rndne_f32_e32 v6, v5
	v_fma_f32 v3, v1, v4, -v3
	v_sub_f32_e32 v7, v5, v6
	v_fma_f32 v5, v2, s0, -v5
	v_add_f32_e32 v3, 0x3642095e, v3
	v_fmac_f32_e32 v5, 0x32a5705f, v2
	v_fma_f32 v4, v1, v3, -v4
	v_add_f32_e32 v5, v7, v5
	v_add_f32_e32 v4, 0x38907d1c, v4
	v_exp_f32_e32 v5, v5
	v_cvt_i32_f32_e32 v6, v6
	v_fma_f32 v3, v1, v4, -v3
	v_add_f32_e32 v3, 0x3b5ccc65, v3
	v_fma_f32 v1, v1, v3, -v4
	s_mov_b32 s0, 0xc2ce8ed0
	v_add_f32_e32 v3, 0x3f4df315, v1
	v_ldexp_f32 v1, v5, v6
	v_cmp_ngt_f32_e32 vcc, s0, v2
	s_mov_b32 s0, 0x42b17218
	v_cndmask_b32_e32 v1, 0, v1, vcc
	v_mov_b32_e32 v5, 0x7f800000
	v_cmp_nlt_f32_e32 vcc, s0, v2
	s_mov_b32 s0, 0xf800000
	v_cndmask_b32_e32 v1, v5, v1, vcc
	v_mul_f32_e32 v5, 0x4f800000, v2
	v_cmp_gt_f32_e32 vcc, s0, v2
	v_cndmask_b32_e32 v5, v2, v5, vcc
	v_sqrt_f32_e32 v6, v5
	v_sub_f32_e32 v3, v3, v4
	v_mul_f32_e32 v3, 0.5, v3
	v_mul_f32_e32 v3, v1, v3
	v_add_u32_e32 v4, -1, v6
	v_fma_f32 v7, -v4, v6, v5
	v_cmp_ge_f32_e64 s[0:1], 0, v7
	v_add_u32_e32 v7, 1, v6
	v_cndmask_b32_e64 v4, v6, v4, s[0:1]
	v_fma_f32 v6, -v7, v6, v5
	v_cmp_lt_f32_e64 s[0:1], 0, v6
	v_cndmask_b32_e64 v4, v4, v7, s[0:1]
	v_mul_f32_e32 v6, 0x37800000, v4
	v_cndmask_b32_e32 v4, v4, v6, vcc
	v_mov_b32_e32 v6, 0x260
	v_cmp_class_f32_e32 vcc, v5, v6
	v_cndmask_b32_e32 v4, v4, v5, vcc
	v_div_scale_f32 v5, s[0:1], v4, v4, v3
	v_rcp_f32_e32 v6, v5
	v_fma_f32 v7, -v5, v6, 1.0
	v_fmac_f32_e32 v6, v7, v6
	v_div_scale_f32 v7, vcc, v3, v4, v3
	v_mul_f32_e32 v11, v7, v6
	v_fma_f32 v12, -v5, v11, v7
	v_fmac_f32_e32 v11, v12, v6
	v_fma_f32 v5, -v5, v11, v7
	v_div_fmas_f32 v5, v5, v6, v11
	v_div_fixup_f32 v3, v5, v4, v3
.LBB20_285:
	s_or_b64 exec, exec, s[28:29]
	v_fma_f32 v2, v2, v2, -2.0
	v_mov_b32_e32 v4, 0x293fd856
	v_fmac_f32_e32 v4, 0x251e770f, v2
	v_mov_b32_e32 v5, 0xa51e770f
	v_fmac_f32_e32 v5, v2, v4
	v_add_f32_e32 v5, 0x2d3612e2, v5
	v_fma_f32 v4, v2, v5, -v4
	v_add_f32_e32 v4, 0x3102e09b, v4
	v_fma_f32 v5, v2, v4, -v5
	;; [unrolled: 2-line block ×6, first 2 shown]
	v_add_f32_e32 v5, 0x3eb046c4, v5
	s_mov_b32 s0, 0x800000
	v_fma_f32 v2, v2, v5, -v4
	v_mov_b32_e32 v5, 0x4f800000
	v_cmp_gt_f32_e32 vcc, s0, v0
	v_cndmask_b32_e32 v5, 1.0, v5, vcc
	v_mul_f32_e32 v0, v0, v5
	v_log_f32_e32 v0, v0
	v_add_f32_e32 v2, 0xbf090b37, v2
	v_sub_f32_e32 v2, v2, v4
	s_mov_b32 s0, 0x3f317217
	v_mul_f32_e32 v4, 0x3f317217, v0
	v_fma_f32 v5, v0, s0, -v4
	v_fmac_f32_e32 v5, 0x3377d1cf, v0
	s_mov_b32 s0, 0x7f800000
	v_add_f32_e32 v4, v4, v5
	v_cmp_lt_f32_e64 s[0:1], |v0|, s0
	v_cndmask_b32_e64 v0, v0, v4, s[0:1]
	v_mov_b32_e32 v4, 0x41b17218
	v_cndmask_b32_e32 v4, 0, v4, vcc
	v_sub_f32_e32 v0, v0, v4
	v_mul_f32_e32 v0, v0, v3
	v_fma_f32 v0, v2, 0.5, -v0
	v_mul_f32_e32 v0, v1, v0
                                        ; implicit-def: $vgpr2
.LBB20_286:
	s_andn2_saveexec_b64 s[26:27], s[26:27]
	s_cbranch_execz .LBB20_288
; %bb.287:
	s_mov_b32 s28, 0x41000000
	v_div_scale_f32 v0, s[0:1], v2, v2, s28
	v_rcp_f32_e32 v1, v0
	v_div_scale_f32 v3, vcc, s28, v2, s28
	s_mov_b32 s0, 0xf800000
	v_fma_f32 v4, -v0, v1, 1.0
	v_fmac_f32_e32 v1, v4, v1
	v_mul_f32_e32 v4, v3, v1
	v_fma_f32 v5, -v0, v4, v3
	v_fmac_f32_e32 v4, v5, v1
	v_fma_f32 v0, -v0, v4, v3
	v_div_fmas_f32 v0, v0, v1, v4
	v_div_fixup_f32 v0, v0, v2, s28
	v_add_f32_e32 v0, -2.0, v0
	v_mov_b32_e32 v1, 0xa397f665
	v_fmac_f32_e32 v1, 0x22c38d2e, v0
	v_mov_b32_e32 v3, 0xa2c38d2e
	v_fmac_f32_e32 v3, v0, v1
	v_add_f32_e32 v3, 0x24704972, v3
	v_fma_f32 v1, v0, v3, -v1
	v_add_f32_e32 v1, 0xa5417ca4, v1
	v_fma_f32 v3, v0, v1, -v3
	;; [unrolled: 2-line block ×22, first 2 shown]
	v_mul_f32_e32 v1, 0x4f800000, v2
	v_cmp_gt_f32_e32 vcc, s0, v2
	v_cndmask_b32_e32 v1, v2, v1, vcc
	v_sqrt_f32_e32 v2, v1
	v_add_f32_e32 v0, 0x401c2ded, v0
	v_sub_f32_e32 v0, v0, v3
	v_mul_f32_e32 v0, 0.5, v0
	v_add_u32_e32 v3, -1, v2
	v_fma_f32 v4, -v3, v2, v1
	v_cmp_ge_f32_e64 s[0:1], 0, v4
	v_add_u32_e32 v4, 1, v2
	v_cndmask_b32_e64 v3, v2, v3, s[0:1]
	v_fma_f32 v2, -v4, v2, v1
	v_cmp_lt_f32_e64 s[0:1], 0, v2
	v_cndmask_b32_e64 v2, v3, v4, s[0:1]
	v_mul_f32_e32 v3, 0x37800000, v2
	v_cndmask_b32_e32 v2, v2, v3, vcc
	v_mov_b32_e32 v3, 0x260
	v_cmp_class_f32_e32 vcc, v1, v3
	v_cndmask_b32_e32 v1, v2, v1, vcc
	v_div_scale_f32 v2, s[0:1], v1, v1, v0
	v_rcp_f32_e32 v3, v2
	v_fma_f32 v4, -v2, v3, 1.0
	v_fmac_f32_e32 v3, v4, v3
	v_div_scale_f32 v4, vcc, v0, v1, v0
	v_mul_f32_e32 v5, v4, v3
	v_fma_f32 v6, -v2, v5, v4
	v_fmac_f32_e32 v5, v6, v3
	v_fma_f32 v2, -v2, v5, v4
	v_div_fmas_f32 v2, v2, v3, v5
	v_div_fixup_f32 v0, v2, v1, v0
.LBB20_288:
	s_or_b64 exec, exec, s[26:27]
.LBB20_289:
	s_or_b64 exec, exec, s[24:25]
.LBB20_290:
	s_or_b64 exec, exec, s[20:21]
	v_mul_lo_u32 v1, v8, s12
	v_ashrrev_i32_e32 v3, 31, v1
	v_mov_b32_e32 v4, s9
	v_add_co_u32_e32 v2, vcc, s8, v1
	v_mov_b32_e32 v1, 11
	v_addc_co_u32_e32 v3, vcc, v4, v3, vcc
	v_cmp_lt_i16_sdwa s[0:1], v10, v1 src0_sel:BYTE_0 src1_sel:DWORD
	s_and_b64 vcc, exec, s[0:1]
	s_cbranch_vccnz .LBB20_298
; %bb.291:
	v_mov_b32_e32 v1, 25
	v_cmp_gt_i16_sdwa s[0:1], v10, v1 src0_sel:BYTE_0 src1_sel:DWORD
	s_and_b64 vcc, exec, s[0:1]
	s_cbranch_vccz .LBB20_300
; %bb.292:
	v_mov_b32_e32 v1, 28
	v_cmp_gt_i16_sdwa s[0:1], v10, v1 src0_sel:BYTE_0 src1_sel:DWORD
	s_and_b64 vcc, exec, s[0:1]
	s_cbranch_vccz .LBB20_302
	;; [unrolled: 5-line block ×4, first 2 shown]
; %bb.295:
	v_mov_b32_e32 v1, 46
	v_cmp_eq_u16_sdwa s[20:21], v10, v1 src0_sel:BYTE_0 src1_sel:DWORD
	s_mov_b64 s[24:25], 0
	s_mov_b64 s[0:1], -1
	s_and_b64 vcc, exec, s[20:21]
	s_mov_b64 s[20:21], 0
	s_cbranch_vccz .LBB20_314
; %bb.296:
	v_bfe_u32 v1, v0, 16, 1
	s_movk_i32 s0, 0x7fff
	v_add3_u32 v1, v0, v1, s0
	v_lshrrev_b32_e32 v1, 16, v1
	v_mov_b32_e32 v4, 0x7fc0
	v_cmp_o_f32_e32 vcc, v0, v0
	v_cndmask_b32_e32 v1, v4, v1, vcc
	global_store_dword v[2:3], v1, off
	s_mov_b64 s[20:21], -1
	s_mov_b64 s[0:1], 0
	s_branch .LBB20_314
.LBB20_297:
	s_mov_b64 s[20:21], -1
	s_mov_b64 s[0:1], 0
	s_mov_b64 s[18:19], s[14:15]
                                        ; implicit-def: $vgpr2
	s_branch .LBB20_451
.LBB20_298:
	s_mov_b64 s[24:25], -1
	s_mov_b64 s[20:21], 0
	s_mov_b64 s[0:1], s[6:7]
	s_branch .LBB20_383
.LBB20_299:
	s_mov_b64 s[20:21], -1
	s_mov_b64 s[0:1], 0
	s_mov_b64 s[18:19], s[14:15]
                                        ; implicit-def: $vgpr2
	s_branch .LBB20_432
.LBB20_300:
	s_mov_b64 s[24:25], -1
	s_mov_b64 s[20:21], 0
	s_mov_b64 s[0:1], s[6:7]
	s_branch .LBB20_341
.LBB20_301:
	s_mov_b64 s[20:21], -1
	s_mov_b64 s[0:1], 0
	s_mov_b64 s[18:19], s[14:15]
                                        ; implicit-def: $vgpr2
	s_branch .LBB20_427
.LBB20_302:
	s_mov_b64 s[24:25], -1
	s_mov_b64 s[20:21], 0
	s_mov_b64 s[0:1], s[6:7]
	s_branch .LBB20_324
.LBB20_303:
	s_or_saveexec_b64 s[22:23], s[22:23]
                                        ; implicit-def: $sgpr24
	s_xor_b64 exec, exec, s[22:23]
	s_cbranch_execz .LBB20_67
.LBB20_304:
	s_mov_b32 s24, 0x46000000
	v_add_f32_e64 v1, |v0|, s24
	v_and_b32_e32 v1, 0xff, v1
	v_cmp_ne_u32_e32 vcc, 0, v1
	s_andn2_b64 s[18:19], s[18:19], exec
	s_and_b64 s[26:27], vcc, exec
	s_mov_b32 s24, 0
	s_or_b64 s[18:19], s[18:19], s[26:27]
	s_or_b64 exec, exec, s[22:23]
	v_mov_b32_e32 v4, s24
	s_and_saveexec_b64 s[22:23], s[18:19]
	s_cbranch_execnz .LBB20_68
	s_branch .LBB20_69
.LBB20_305:
	s_mov_b64 s[20:21], -1
	s_mov_b64 s[0:1], 0
	s_mov_b64 s[18:19], s[14:15]
                                        ; implicit-def: $vgpr2
	s_branch .LBB20_310
.LBB20_306:
	s_mov_b64 s[24:25], -1
	s_mov_b64 s[20:21], 0
	s_mov_b64 s[0:1], s[6:7]
	s_branch .LBB20_320
.LBB20_307:
	s_or_saveexec_b64 s[22:23], s[22:23]
                                        ; implicit-def: $sgpr24
	s_xor_b64 exec, exec, s[22:23]
	s_cbranch_execz .LBB20_80
.LBB20_308:
	s_mov_b32 s24, 0x42800000
	v_add_f32_e64 v1, |v0|, s24
	v_and_b32_e32 v1, 0xff, v1
	v_cmp_ne_u32_e32 vcc, 0, v1
	s_andn2_b64 s[18:19], s[18:19], exec
	s_and_b64 s[26:27], vcc, exec
	s_mov_b32 s24, 0
	s_or_b64 s[18:19], s[18:19], s[26:27]
	s_or_b64 exec, exec, s[22:23]
	v_mov_b32_e32 v4, s24
	s_and_saveexec_b64 s[22:23], s[18:19]
	s_cbranch_execnz .LBB20_81
	s_branch .LBB20_82
.LBB20_309:
	s_mov_b64 s[18:19], -1
                                        ; implicit-def: $vgpr2
	s_mov_b64 s[0:1], 0
.LBB20_310:
	s_and_b64 vcc, exec, s[20:21]
	s_cbranch_vccz .LBB20_426
; %bb.311:
	v_cmp_eq_u16_e32 vcc, 44, v9
	s_cbranch_vccz .LBB20_425
; %bb.312:
	global_load_ubyte v2, v[0:1], off
	s_movk_i32 s18, 0xff
	v_mov_b32_e32 v3, 0x7f800001
	v_mov_b32_e32 v4, 0x400000
	s_mov_b64 s[0:1], -1
	s_waitcnt vmcnt(0)
	v_lshlrev_b32_e32 v5, 23, v2
	v_cmp_ne_u32_e32 vcc, s18, v2
	v_cndmask_b32_e32 v3, v3, v5, vcc
	v_cmp_ne_u32_e32 vcc, 0, v2
	v_cndmask_b32_e32 v2, v4, v3, vcc
	s_mov_b64 s[18:19], 0
	s_branch .LBB20_426
.LBB20_313:
	s_mov_b64 s[24:25], -1
	s_mov_b64 s[20:21], 0
	s_mov_b64 s[0:1], s[6:7]
.LBB20_314:
	s_and_b64 vcc, exec, s[24:25]
	s_cbranch_vccz .LBB20_319
; %bb.315:
	v_mov_b32_e32 v1, 44
	v_cmp_eq_u16_sdwa s[24:25], v10, v1 src0_sel:BYTE_0 src1_sel:DWORD
	s_mov_b64 s[0:1], -1
	s_and_b64 vcc, exec, s[24:25]
	s_cbranch_vccz .LBB20_319
; %bb.316:
	v_bfe_u32 v1, v0, 23, 8
	s_movk_i32 s0, 0xff
	v_cmp_ne_u32_e32 vcc, s0, v1
	v_mov_b32_e32 v4, 0xff
	s_and_saveexec_b64 s[20:21], vcc
; %bb.317:
	s_mov_b32 s0, 0x3fffff
	v_and_b32_e32 v5, 0x400000, v0
	v_and_or_b32 v1, v0, s0, v1
	v_cmp_ne_u32_e32 vcc, 0, v5
	v_cmp_ne_u32_e64 s[0:1], 0, v1
	s_and_b64 s[0:1], vcc, s[0:1]
	v_lshrrev_b32_e32 v4, 23, v0
	v_cndmask_b32_e64 v1, 0, 1, s[0:1]
	v_add_u32_e32 v4, v4, v1
; %bb.318:
	s_or_b64 exec, exec, s[20:21]
	s_mov_b64 s[20:21], -1
	s_mov_b64 s[0:1], 0
	global_store_byte v[2:3], v4, off
.LBB20_319:
	s_mov_b64 s[24:25], 0
.LBB20_320:
	s_and_b64 vcc, exec, s[24:25]
	s_cbranch_vccz .LBB20_323
; %bb.321:
	v_mov_b32_e32 v1, 29
	v_cmp_eq_u16_sdwa s[24:25], v10, v1 src0_sel:BYTE_0 src1_sel:DWORD
	s_mov_b64 s[0:1], -1
	s_and_b64 vcc, exec, s[24:25]
	s_cbranch_vccz .LBB20_323
; %bb.322:
	v_trunc_f32_e32 v1, v0
	v_mul_f32_e32 v4, 0x2f800000, v1
	v_floor_f32_e32 v4, v4
	v_fmac_f32_e32 v1, 0xcf800000, v4
	v_cvt_u32_f32_e32 v5, v4
	v_cvt_u32_f32_e32 v4, v1
	s_mov_b64 s[20:21], -1
	s_mov_b64 s[0:1], 0
	s_mov_b64 s[24:25], 0
	global_store_dwordx2 v[2:3], v[4:5], off
	s_branch .LBB20_324
.LBB20_323:
	s_mov_b64 s[24:25], 0
.LBB20_324:
	s_and_b64 vcc, exec, s[24:25]
	s_cbranch_vccz .LBB20_340
; %bb.325:
	v_mov_b32_e32 v1, 27
	v_cmp_lt_i16_sdwa s[24:25], v10, v1 src0_sel:BYTE_0 src1_sel:DWORD
	s_mov_b64 s[20:21], -1
	s_and_b64 vcc, exec, s[24:25]
	s_cbranch_vccnz .LBB20_331
; %bb.326:
	v_cmp_gt_i16_sdwa s[24:25], v10, v1 src0_sel:BYTE_0 src1_sel:DWORD
	v_cvt_u32_f32_e32 v1, v0
	s_and_b64 vcc, exec, s[24:25]
	s_cbranch_vccz .LBB20_328
; %bb.327:
	s_mov_b64 s[20:21], 0
	global_store_dword v[2:3], v1, off
.LBB20_328:
	s_andn2_b64 vcc, exec, s[20:21]
	s_cbranch_vccnz .LBB20_330
; %bb.329:
	global_store_short v[2:3], v1, off
.LBB20_330:
	s_mov_b64 s[20:21], 0
.LBB20_331:
	s_andn2_b64 vcc, exec, s[20:21]
	s_cbranch_vccnz .LBB20_339
; %bb.332:
	v_and_b32_e32 v1, 0x7fffffff, v0
	s_mov_b32 s20, 0x43800000
	v_cmp_gt_u32_e32 vcc, s20, v1
	v_mov_b32_e32 v4, 0x80
	s_and_saveexec_b64 s[20:21], vcc
	s_cbranch_execz .LBB20_338
; %bb.333:
	s_mov_b32 s24, 0x3bffffff
	v_cmp_lt_u32_e32 vcc, s24, v1
	s_mov_b64 s[24:25], 0
                                        ; implicit-def: $vgpr1
	s_and_saveexec_b64 s[26:27], vcc
	s_xor_b64 s[26:27], exec, s[26:27]
	s_cbranch_execz .LBB20_550
; %bb.334:
	v_bfe_u32 v1, v0, 20, 1
	s_mov_b32 s28, 0x487ffff
	v_add3_u32 v1, v0, v1, s28
	s_mov_b64 s[24:25], exec
	v_lshrrev_b32_e32 v1, 20, v1
	s_or_saveexec_b64 s[26:27], s[26:27]
                                        ; implicit-def: $sgpr28
	s_xor_b64 exec, exec, s[26:27]
	s_cbranch_execnz .LBB20_551
.LBB20_335:
	s_or_b64 exec, exec, s[26:27]
	v_mov_b32_e32 v4, s28
	s_and_saveexec_b64 s[26:27], s[24:25]
.LBB20_336:
	v_lshrrev_b32_e32 v4, 24, v0
	s_movk_i32 s24, 0x80
	v_and_or_b32 v4, v4, s24, v1
.LBB20_337:
	s_or_b64 exec, exec, s[26:27]
.LBB20_338:
	s_or_b64 exec, exec, s[20:21]
	global_store_byte v[2:3], v4, off
.LBB20_339:
	s_mov_b64 s[20:21], -1
.LBB20_340:
	s_mov_b64 s[24:25], 0
.LBB20_341:
	s_and_b64 vcc, exec, s[24:25]
	s_cbranch_vccz .LBB20_382
; %bb.342:
	v_mov_b32_e32 v1, 22
	v_cmp_gt_i16_sdwa s[26:27], v10, v1 src0_sel:BYTE_0 src1_sel:DWORD
	s_mov_b64 s[24:25], -1
	s_and_b64 vcc, exec, s[26:27]
	s_cbranch_vccz .LBB20_374
; %bb.343:
	v_mov_b32_e32 v1, 24
	v_cmp_lt_i16_sdwa s[24:25], v10, v1 src0_sel:BYTE_0 src1_sel:DWORD
	s_mov_b64 s[20:21], -1
	s_and_b64 vcc, exec, s[24:25]
	s_cbranch_vccnz .LBB20_363
; %bb.344:
	v_cmp_gt_i16_sdwa s[24:25], v10, v1 src0_sel:BYTE_0 src1_sel:DWORD
	s_and_b64 vcc, exec, s[24:25]
	s_cbranch_vccz .LBB20_352
; %bb.345:
	v_and_b32_e32 v1, 0x7fffffff, v0
	s_mov_b32 s20, 0x47800000
	v_cmp_gt_u32_e32 vcc, s20, v1
	v_mov_b32_e32 v4, 0x80
	s_and_saveexec_b64 s[20:21], vcc
	s_cbranch_execz .LBB20_351
; %bb.346:
	s_mov_b32 s24, 0x37ffffff
	v_cmp_lt_u32_e32 vcc, s24, v1
	s_mov_b64 s[24:25], 0
                                        ; implicit-def: $vgpr1
	s_and_saveexec_b64 s[26:27], vcc
	s_xor_b64 s[26:27], exec, s[26:27]
	s_cbranch_execz .LBB20_553
; %bb.347:
	v_bfe_u32 v1, v0, 21, 1
	s_mov_b32 s28, 0x88fffff
	v_add3_u32 v1, v0, v1, s28
	s_mov_b64 s[24:25], exec
	v_lshrrev_b32_e32 v1, 21, v1
	s_or_saveexec_b64 s[26:27], s[26:27]
                                        ; implicit-def: $sgpr28
	s_xor_b64 exec, exec, s[26:27]
	s_cbranch_execnz .LBB20_554
.LBB20_348:
	s_or_b64 exec, exec, s[26:27]
	v_mov_b32_e32 v4, s28
	s_and_saveexec_b64 s[26:27], s[24:25]
.LBB20_349:
	v_lshrrev_b32_e32 v4, 24, v0
	s_movk_i32 s24, 0x80
	v_and_or_b32 v4, v4, s24, v1
.LBB20_350:
	s_or_b64 exec, exec, s[26:27]
.LBB20_351:
	s_or_b64 exec, exec, s[20:21]
	s_mov_b64 s[20:21], 0
	global_store_byte v[2:3], v4, off
.LBB20_352:
	s_and_b64 vcc, exec, s[20:21]
	s_cbranch_vccz .LBB20_362
; %bb.353:
	v_and_b32_e32 v4, 0x7fffffff, v0
	s_mov_b32 s20, 0x43f00000
	v_cmp_gt_u32_e32 vcc, s20, v4
                                        ; implicit-def: $vgpr1
	s_and_saveexec_b64 s[20:21], vcc
	s_xor_b64 s[20:21], exec, s[20:21]
	s_cbranch_execz .LBB20_359
; %bb.354:
	s_mov_b32 s24, 0x3c7fffff
	v_cmp_lt_u32_e32 vcc, s24, v4
                                        ; implicit-def: $vgpr1
	s_and_saveexec_b64 s[24:25], vcc
	s_xor_b64 s[24:25], exec, s[24:25]
; %bb.355:
	v_bfe_u32 v1, v0, 20, 1
	s_mov_b32 s26, 0x407ffff
	v_add3_u32 v1, v0, v1, s26
	v_lshrrev_b32_e32 v4, 20, v1
	v_and_b32_e32 v1, 0xff00000, v1
	s_mov_b32 s26, 0x7f00000
	v_mov_b32_e32 v5, 0x7e
	v_cmp_ne_u32_e32 vcc, s26, v1
	v_cndmask_b32_e32 v1, v5, v4, vcc
; %bb.356:
	s_andn2_saveexec_b64 s[24:25], s[24:25]
; %bb.357:
	s_mov_b32 s26, 0x46800000
	v_add_f32_e64 v1, |v0|, s26
; %bb.358:
	s_or_b64 exec, exec, s[24:25]
                                        ; implicit-def: $vgpr4
.LBB20_359:
	s_andn2_saveexec_b64 s[20:21], s[20:21]
; %bb.360:
	s_mov_b32 s24, 0x7f800000
	v_mov_b32_e32 v1, 0x7e
	v_mov_b32_e32 v5, 0x7f
	v_cmp_lt_u32_e32 vcc, s24, v4
	v_cndmask_b32_e32 v1, v1, v5, vcc
; %bb.361:
	s_or_b64 exec, exec, s[20:21]
	v_lshrrev_b32_e32 v4, 24, v0
	s_movk_i32 s20, 0x80
	v_and_or_b32 v1, v4, s20, v1
	global_store_byte v[2:3], v1, off
.LBB20_362:
	s_mov_b64 s[20:21], 0
.LBB20_363:
	s_andn2_b64 vcc, exec, s[20:21]
	s_cbranch_vccnz .LBB20_373
; %bb.364:
	v_and_b32_e32 v4, 0x7fffffff, v0
	s_mov_b32 s20, 0x47800000
	v_cmp_gt_u32_e32 vcc, s20, v4
                                        ; implicit-def: $vgpr1
	s_and_saveexec_b64 s[20:21], vcc
	s_xor_b64 s[20:21], exec, s[20:21]
	s_cbranch_execz .LBB20_370
; %bb.365:
	s_mov_b32 s24, 0x387fffff
	v_cmp_lt_u32_e32 vcc, s24, v4
                                        ; implicit-def: $vgpr1
	s_and_saveexec_b64 s[24:25], vcc
	s_xor_b64 s[24:25], exec, s[24:25]
; %bb.366:
	v_bfe_u32 v1, v0, 21, 1
	s_mov_b32 s26, 0x80fffff
	v_add3_u32 v1, v0, v1, s26
	v_lshrrev_b32_e32 v1, 21, v1
; %bb.367:
	s_andn2_saveexec_b64 s[24:25], s[24:25]
; %bb.368:
	s_mov_b32 s26, 0x43000000
	v_add_f32_e64 v1, |v0|, s26
; %bb.369:
	s_or_b64 exec, exec, s[24:25]
                                        ; implicit-def: $vgpr4
.LBB20_370:
	s_andn2_saveexec_b64 s[20:21], s[20:21]
; %bb.371:
	s_mov_b32 s24, 0x7f800000
	v_mov_b32_e32 v1, 0x7c
	v_mov_b32_e32 v5, 0x7f
	v_cmp_lt_u32_e32 vcc, s24, v4
	v_cndmask_b32_e32 v1, v1, v5, vcc
; %bb.372:
	s_or_b64 exec, exec, s[20:21]
	v_lshrrev_b32_e32 v4, 24, v0
	s_movk_i32 s20, 0x80
	v_and_or_b32 v1, v4, s20, v1
	global_store_byte v[2:3], v1, off
.LBB20_373:
	s_mov_b64 s[24:25], 0
	s_mov_b64 s[20:21], -1
.LBB20_374:
	s_andn2_b64 vcc, exec, s[24:25]
	s_cbranch_vccnz .LBB20_382
; %bb.375:
	v_mov_b32_e32 v1, 14
	v_cmp_gt_i16_sdwa s[26:27], v10, v1 src0_sel:BYTE_0 src1_sel:DWORD
	s_mov_b64 s[24:25], -1
	s_and_b64 vcc, exec, s[26:27]
	s_cbranch_vccz .LBB20_379
; %bb.376:
	v_mov_b32_e32 v1, 15
	v_cmp_eq_u16_sdwa s[24:25], v10, v1 src0_sel:BYTE_0 src1_sel:DWORD
	s_mov_b64 s[0:1], -1
	s_and_b64 vcc, exec, s[24:25]
	s_cbranch_vccz .LBB20_378
; %bb.377:
	v_bfe_u32 v1, v0, 16, 1
	s_movk_i32 s0, 0x7fff
	v_add3_u32 v1, v0, v1, s0
	v_lshrrev_b32_e32 v1, 16, v1
	v_mov_b32_e32 v4, 0x7fc0
	v_cmp_o_f32_e32 vcc, v0, v0
	v_cndmask_b32_e32 v1, v4, v1, vcc
	global_store_short v[2:3], v1, off
	s_mov_b64 s[20:21], -1
	s_mov_b64 s[0:1], 0
.LBB20_378:
	s_mov_b64 s[24:25], 0
.LBB20_379:
	s_and_b64 vcc, exec, s[24:25]
	s_cbranch_vccz .LBB20_382
; %bb.380:
	v_mov_b32_e32 v1, 11
	v_cmp_eq_u16_sdwa s[24:25], v10, v1 src0_sel:BYTE_0 src1_sel:DWORD
	s_mov_b64 s[0:1], -1
	s_and_b64 vcc, exec, s[24:25]
	s_cbranch_vccz .LBB20_382
; %bb.381:
	v_cmp_neq_f32_e32 vcc, 0, v0
	v_cndmask_b32_e64 v1, 0, 1, vcc
	s_mov_b64 s[20:21], -1
	s_mov_b64 s[0:1], 0
	global_store_byte v[2:3], v1, off
.LBB20_382:
	s_mov_b64 s[24:25], 0
.LBB20_383:
	s_and_b64 vcc, exec, s[24:25]
	s_cbranch_vccz .LBB20_422
; %bb.384:
	v_mov_b32_e32 v1, 5
	v_cmp_lt_i16_sdwa s[24:25], v10, v1 src0_sel:BYTE_0 src1_sel:DWORD
	s_mov_b64 s[20:21], -1
	s_and_b64 vcc, exec, s[24:25]
	s_cbranch_vccnz .LBB20_405
; %bb.385:
	v_mov_b32_e32 v1, 8
	v_cmp_lt_i16_sdwa s[24:25], v10, v1 src0_sel:BYTE_0 src1_sel:DWORD
	s_and_b64 vcc, exec, s[24:25]
	s_cbranch_vccnz .LBB20_395
; %bb.386:
	v_mov_b32_e32 v1, 9
	v_cmp_lt_i16_sdwa s[24:25], v10, v1 src0_sel:BYTE_0 src1_sel:DWORD
	s_and_b64 vcc, exec, s[24:25]
	s_cbranch_vccnz .LBB20_392
; %bb.387:
	v_cmp_gt_i16_sdwa s[24:25], v10, v1 src0_sel:BYTE_0 src1_sel:DWORD
	s_and_b64 vcc, exec, s[24:25]
	s_cbranch_vccz .LBB20_389
; %bb.388:
	v_mov_b32_e32 v6, 0
	v_cvt_f64_f32_e32 v[4:5], v0
	v_mov_b32_e32 v7, v6
	s_mov_b64 s[20:21], 0
	global_store_dwordx4 v[2:3], v[4:7], off
.LBB20_389:
	s_andn2_b64 vcc, exec, s[20:21]
	s_cbranch_vccnz .LBB20_391
; %bb.390:
	v_mov_b32_e32 v1, 0
	global_store_dwordx2 v[2:3], v[0:1], off
.LBB20_391:
	s_mov_b64 s[20:21], 0
.LBB20_392:
	s_andn2_b64 vcc, exec, s[20:21]
	s_cbranch_vccnz .LBB20_394
; %bb.393:
	v_cvt_f16_f32_e32 v1, v0
	global_store_dword v[2:3], v1, off
.LBB20_394:
	s_mov_b64 s[20:21], 0
.LBB20_395:
	s_andn2_b64 vcc, exec, s[20:21]
	s_cbranch_vccnz .LBB20_404
; %bb.396:
	v_mov_b32_e32 v1, 6
	v_cmp_lt_i16_sdwa s[24:25], v10, v1 src0_sel:BYTE_0 src1_sel:DWORD
	s_mov_b64 s[20:21], -1
	s_and_b64 vcc, exec, s[24:25]
	s_cbranch_vccnz .LBB20_402
; %bb.397:
	v_cmp_gt_i16_sdwa s[24:25], v10, v1 src0_sel:BYTE_0 src1_sel:DWORD
	s_and_b64 vcc, exec, s[24:25]
	s_cbranch_vccz .LBB20_399
; %bb.398:
	v_cvt_f64_f32_e32 v[4:5], v0
	s_mov_b64 s[20:21], 0
	global_store_dwordx2 v[2:3], v[4:5], off
.LBB20_399:
	s_andn2_b64 vcc, exec, s[20:21]
	s_cbranch_vccnz .LBB20_401
; %bb.400:
	global_store_dword v[2:3], v0, off
.LBB20_401:
	s_mov_b64 s[20:21], 0
.LBB20_402:
	s_andn2_b64 vcc, exec, s[20:21]
	s_cbranch_vccnz .LBB20_404
; %bb.403:
	v_cvt_f16_f32_e32 v1, v0
	global_store_short v[2:3], v1, off
.LBB20_404:
	s_mov_b64 s[20:21], 0
.LBB20_405:
	s_andn2_b64 vcc, exec, s[20:21]
	s_cbranch_vccnz .LBB20_421
; %bb.406:
	v_mov_b32_e32 v1, 2
	v_cmp_lt_i16_sdwa s[24:25], v10, v1 src0_sel:BYTE_0 src1_sel:DWORD
	s_mov_b64 s[20:21], -1
	s_and_b64 vcc, exec, s[24:25]
	s_cbranch_vccnz .LBB20_416
; %bb.407:
	v_mov_b32_e32 v1, 3
	v_cmp_lt_i16_sdwa s[24:25], v10, v1 src0_sel:BYTE_0 src1_sel:DWORD
	s_and_b64 vcc, exec, s[24:25]
	s_cbranch_vccnz .LBB20_413
; %bb.408:
	v_cmp_gt_i16_sdwa s[24:25], v10, v1 src0_sel:BYTE_0 src1_sel:DWORD
	s_and_b64 vcc, exec, s[24:25]
	s_cbranch_vccz .LBB20_410
; %bb.409:
	v_trunc_f32_e32 v1, v0
	s_mov_b32 s20, 0x2f800000
	v_mul_f32_e64 v4, |v1|, s20
	v_floor_f32_e32 v4, v4
	s_mov_b32 s20, 0xcf800000
	v_cvt_u32_f32_e32 v5, v4
	v_fma_f32 v4, v4, s20, |v1|
	v_cvt_u32_f32_e32 v4, v4
	v_ashrrev_i32_e32 v1, 31, v1
	v_xor_b32_e32 v5, v5, v1
	s_mov_b64 s[20:21], 0
	v_xor_b32_e32 v4, v4, v1
	v_sub_co_u32_e32 v4, vcc, v4, v1
	v_subb_co_u32_e32 v5, vcc, v5, v1, vcc
	global_store_dwordx2 v[2:3], v[4:5], off
.LBB20_410:
	s_andn2_b64 vcc, exec, s[20:21]
	s_cbranch_vccnz .LBB20_412
; %bb.411:
	v_cvt_i32_f32_e32 v1, v0
	global_store_dword v[2:3], v1, off
.LBB20_412:
	s_mov_b64 s[20:21], 0
.LBB20_413:
	s_andn2_b64 vcc, exec, s[20:21]
	s_cbranch_vccnz .LBB20_415
; %bb.414:
	v_cvt_i32_f32_e32 v1, v0
	global_store_short v[2:3], v1, off
.LBB20_415:
	s_mov_b64 s[20:21], 0
.LBB20_416:
	s_andn2_b64 vcc, exec, s[20:21]
	s_cbranch_vccnz .LBB20_421
; %bb.417:
	v_mov_b32_e32 v1, 0
	v_cmp_gt_i16_sdwa s[24:25], v10, v1 src0_sel:BYTE_0 src1_sel:DWORD
	s_mov_b64 s[20:21], -1
	s_and_b64 vcc, exec, s[24:25]
	s_cbranch_vccz .LBB20_419
; %bb.418:
	v_cvt_i32_f32_e32 v1, v0
	s_mov_b64 s[20:21], 0
	global_store_byte v[2:3], v1, off
.LBB20_419:
	s_andn2_b64 vcc, exec, s[20:21]
	s_cbranch_vccnz .LBB20_421
; %bb.420:
	v_trunc_f32_e32 v0, v0
	s_mov_b32 s20, 0x2f800000
	v_mul_f32_e64 v1, |v0|, s20
	v_floor_f32_e32 v1, v1
	s_mov_b32 s20, 0xcf800000
	v_fma_f32 v1, v1, s20, |v0|
	v_cvt_u32_f32_e32 v1, v1
	v_ashrrev_i32_e32 v0, 31, v0
	v_xor_b32_e32 v1, v1, v0
	v_sub_u32_e32 v0, v1, v0
	global_store_byte v[2:3], v0, off
.LBB20_421:
	s_mov_b64 s[20:21], -1
.LBB20_422:
	s_andn2_b64 vcc, exec, s[20:21]
	s_cbranch_vccnz .LBB20_424
; %bb.423:
	v_add_u32_e32 v8, 0x80, v8
	s_mov_b64 s[24:25], -1
	s_branch .LBB20_536
.LBB20_424:
	s_mov_b64 s[24:25], 0
                                        ; implicit-def: $vgpr8
	s_branch .LBB20_536
.LBB20_425:
	s_mov_b64 s[18:19], -1
                                        ; implicit-def: $vgpr2
.LBB20_426:
	s_mov_b64 s[20:21], 0
.LBB20_427:
	s_and_b64 vcc, exec, s[20:21]
	s_cbranch_vccz .LBB20_431
; %bb.428:
	v_cmp_eq_u16_e32 vcc, 29, v9
	s_cbranch_vccz .LBB20_430
; %bb.429:
	global_load_dwordx2 v[2:3], v[0:1], off
	s_mov_b64 s[0:1], -1
	s_mov_b64 s[18:19], 0
	s_mov_b64 s[20:21], 0
	s_waitcnt vmcnt(0)
	v_ffbh_u32_e32 v4, v3
	v_min_u32_e32 v4, 32, v4
	v_lshlrev_b64 v[2:3], v4, v[2:3]
	v_min_u32_e32 v2, 1, v2
	v_or_b32_e32 v2, v3, v2
	v_cvt_f32_u32_e32 v2, v2
	v_sub_u32_e32 v3, 32, v4
	v_ldexp_f32 v2, v2, v3
	s_branch .LBB20_432
.LBB20_430:
	s_mov_b64 s[18:19], -1
                                        ; implicit-def: $vgpr2
.LBB20_431:
	s_mov_b64 s[20:21], 0
.LBB20_432:
	s_and_b64 vcc, exec, s[20:21]
	s_cbranch_vccz .LBB20_450
; %bb.433:
	v_cmp_gt_i16_e32 vcc, 27, v9
	s_cbranch_vccnz .LBB20_436
; %bb.434:
	v_cmp_lt_i16_e32 vcc, 27, v9
	s_cbranch_vccz .LBB20_437
; %bb.435:
	global_load_dword v2, v[0:1], off
	s_mov_b64 s[0:1], 0
	s_waitcnt vmcnt(0)
	v_cvt_f32_u32_e32 v2, v2
	s_branch .LBB20_438
.LBB20_436:
	s_mov_b64 s[0:1], -1
                                        ; implicit-def: $vgpr2
	s_branch .LBB20_441
.LBB20_437:
	s_mov_b64 s[0:1], -1
                                        ; implicit-def: $vgpr2
.LBB20_438:
	s_andn2_b64 vcc, exec, s[0:1]
	s_cbranch_vccnz .LBB20_440
; %bb.439:
	global_load_ushort v2, v[0:1], off
	s_waitcnt vmcnt(0)
	v_cvt_f32_u32_e32 v2, v2
.LBB20_440:
	s_mov_b64 s[0:1], 0
.LBB20_441:
	s_andn2_b64 vcc, exec, s[0:1]
	s_cbranch_vccnz .LBB20_449
; %bb.442:
	global_load_ubyte v3, v[0:1], off
	s_movk_i32 s0, 0x7f
                                        ; implicit-def: $sgpr26
	s_waitcnt vmcnt(0)
	v_cmp_lt_i16_e32 vcc, s0, v3
	s_mov_b64 s[0:1], 0
	s_and_saveexec_b64 s[20:21], vcc
	s_xor_b64 s[20:21], exec, s[20:21]
	s_cbranch_execz .LBB20_463
; %bb.443:
	s_movk_i32 s0, 0x80
	v_cmp_eq_u16_e32 vcc, s0, v3
	s_mov_b64 s[0:1], -1
                                        ; implicit-def: $sgpr26
	s_and_saveexec_b64 s[24:25], vcc
; %bb.444:
	s_mov_b32 s26, 0x7f800001
	s_xor_b64 s[0:1], exec, -1
; %bb.445:
	s_or_b64 exec, exec, s[24:25]
	s_and_b64 s[0:1], s[0:1], exec
	s_or_saveexec_b64 s[20:21], s[20:21]
	v_mov_b32_e32 v2, s26
	s_xor_b64 exec, exec, s[20:21]
	s_cbranch_execnz .LBB20_464
.LBB20_446:
	s_or_b64 exec, exec, s[20:21]
	s_and_saveexec_b64 s[20:21], s[0:1]
	s_cbranch_execz .LBB20_448
.LBB20_447:
	v_lshlrev_b32_e32 v2, 24, v3
	v_and_b32_e32 v3, 0xffff, v3
	v_and_b32_e32 v4, 7, v3
	v_ffbh_u32_e32 v6, v4
	v_min_u32_e32 v6, 32, v6
	v_subrev_u32_e32 v7, 28, v6
	v_bfe_u32 v5, v3, 3, 4
	v_lshlrev_b32_e32 v3, v7, v3
	v_sub_u32_e32 v6, 29, v6
	v_and_b32_e32 v3, 7, v3
	v_cmp_eq_u32_e32 vcc, 0, v5
	v_cndmask_b32_e32 v5, v5, v6, vcc
	v_cndmask_b32_e32 v3, v4, v3, vcc
	v_mov_b32_e32 v4, 0x3b800000
	v_lshlrev_b32_e32 v3, 20, v3
	v_and_b32_e32 v2, 0x80000000, v2
	v_lshl_add_u32 v4, v5, 23, v4
	v_or3_b32 v2, v2, v4, v3
.LBB20_448:
	s_or_b64 exec, exec, s[20:21]
.LBB20_449:
	s_mov_b64 s[0:1], -1
.LBB20_450:
	s_mov_b64 s[20:21], 0
.LBB20_451:
	s_and_b64 vcc, exec, s[20:21]
	s_cbranch_vccz .LBB20_486
; %bb.452:
	v_cmp_lt_i16_e32 vcc, 22, v9
	s_cbranch_vccz .LBB20_462
; %bb.453:
	v_cmp_gt_i16_e32 vcc, 24, v9
	s_cbranch_vccnz .LBB20_465
; %bb.454:
	v_cmp_lt_i16_e32 vcc, 24, v9
	s_cbranch_vccz .LBB20_466
; %bb.455:
	global_load_ubyte v3, v[0:1], off
	s_movk_i32 s0, 0x7f
                                        ; implicit-def: $sgpr26
	s_waitcnt vmcnt(0)
	v_cmp_lt_i16_e32 vcc, s0, v3
	s_mov_b64 s[0:1], 0
	s_and_saveexec_b64 s[20:21], vcc
	s_xor_b64 s[20:21], exec, s[20:21]
	s_cbranch_execz .LBB20_478
; %bb.456:
	s_movk_i32 s0, 0x80
	v_cmp_eq_u16_e32 vcc, s0, v3
	s_mov_b64 s[0:1], -1
                                        ; implicit-def: $sgpr26
	s_and_saveexec_b64 s[24:25], vcc
; %bb.457:
	s_mov_b32 s26, 0x7f800001
	s_xor_b64 s[0:1], exec, -1
; %bb.458:
	s_or_b64 exec, exec, s[24:25]
	s_and_b64 s[0:1], s[0:1], exec
	s_or_saveexec_b64 s[20:21], s[20:21]
	v_mov_b32_e32 v2, s26
	s_xor_b64 exec, exec, s[20:21]
	s_cbranch_execnz .LBB20_479
.LBB20_459:
	s_or_b64 exec, exec, s[20:21]
	s_and_saveexec_b64 s[20:21], s[0:1]
	s_cbranch_execz .LBB20_461
.LBB20_460:
	v_lshlrev_b32_e32 v2, 24, v3
	v_and_b32_e32 v3, 0xffff, v3
	v_and_b32_e32 v4, 3, v3
	v_ffbh_u32_e32 v6, v4
	v_min_u32_e32 v6, 32, v6
	v_subrev_u32_e32 v7, 29, v6
	v_bfe_u32 v5, v3, 2, 5
	v_lshlrev_b32_e32 v3, v7, v3
	v_sub_u32_e32 v6, 30, v6
	v_and_b32_e32 v3, 3, v3
	v_cmp_eq_u32_e32 vcc, 0, v5
	v_cndmask_b32_e32 v5, v5, v6, vcc
	v_cndmask_b32_e32 v3, v4, v3, vcc
	v_mov_b32_e32 v4, 0x37800000
	v_lshlrev_b32_e32 v3, 21, v3
	v_and_b32_e32 v2, 0x80000000, v2
	v_lshl_add_u32 v4, v5, 23, v4
	v_or3_b32 v2, v2, v4, v3
.LBB20_461:
	s_or_b64 exec, exec, s[20:21]
	s_mov_b64 s[0:1], 0
	s_branch .LBB20_467
.LBB20_462:
	s_mov_b64 s[20:21], -1
                                        ; implicit-def: $vgpr2
	s_branch .LBB20_473
.LBB20_463:
	s_or_saveexec_b64 s[20:21], s[20:21]
	v_mov_b32_e32 v2, s26
	s_xor_b64 exec, exec, s[20:21]
	s_cbranch_execz .LBB20_446
.LBB20_464:
	v_cmp_ne_u16_e32 vcc, 0, v3
	s_andn2_b64 s[0:1], s[0:1], exec
	s_and_b64 s[24:25], vcc, exec
	v_mov_b32_e32 v2, 0
	s_or_b64 s[0:1], s[0:1], s[24:25]
	s_or_b64 exec, exec, s[20:21]
	s_and_saveexec_b64 s[20:21], s[0:1]
	s_cbranch_execnz .LBB20_447
	s_branch .LBB20_448
.LBB20_465:
	s_mov_b64 s[0:1], -1
                                        ; implicit-def: $vgpr2
	s_branch .LBB20_470
.LBB20_466:
	s_mov_b64 s[0:1], -1
                                        ; implicit-def: $vgpr2
.LBB20_467:
	s_and_b64 vcc, exec, s[0:1]
	s_cbranch_vccz .LBB20_469
; %bb.468:
	global_load_ubyte v2, v[0:1], off
	s_mov_b32 s0, 0x7f800000
	s_waitcnt vmcnt(0)
	v_lshlrev_b32_e32 v2, 24, v2
	v_and_b32_e32 v3, 0x7f000000, v2
	v_ffbh_u32_e32 v4, v3
	v_min_u32_e32 v4, 32, v4
	v_sub_u32_e64 v4, v4, 4 clamp
	v_lshlrev_b32_e32 v6, v4, v3
	v_lshlrev_b32_e32 v4, 23, v4
	v_lshrrev_b32_e32 v6, 4, v6
	v_add_u32_e32 v5, 0x1000000, v3
	v_sub_u32_e32 v4, v6, v4
	v_ashrrev_i32_e32 v5, 8, v5
	v_add_u32_e32 v4, 0x3c000000, v4
	v_and_or_b32 v4, v5, s0, v4
	v_cmp_ne_u32_e32 vcc, 0, v3
	v_cndmask_b32_e32 v3, 0, v4, vcc
	s_brev_b32 s0, 1
	v_and_or_b32 v2, v2, s0, v3
.LBB20_469:
	s_mov_b64 s[0:1], 0
.LBB20_470:
	s_andn2_b64 vcc, exec, s[0:1]
	s_cbranch_vccnz .LBB20_472
; %bb.471:
	global_load_ubyte v2, v[0:1], off
	s_movk_i32 s0, 0x7f00
	s_brev_b32 s1, 16
	s_waitcnt vmcnt(0)
	v_lshlrev_b16_e32 v3, 8, v2
	v_lshlrev_b32_e32 v2, 25, v2
	v_lshrrev_b32_e32 v4, 4, v2
	v_and_or_b32 v5, v3, s0, 0.5
	v_or_b32_e32 v4, 0x70000000, v4
	v_add_f32_e32 v5, -0.5, v5
	v_mul_f32_e32 v4, 0x7800000, v4
	v_cmp_gt_u32_e32 vcc, s1, v2
	v_bfe_i32 v3, v3, 0, 16
	v_cndmask_b32_e32 v2, v4, v5, vcc
	s_brev_b32 s0, 1
	v_and_or_b32 v2, v3, s0, v2
.LBB20_472:
	s_mov_b64 s[20:21], 0
	s_mov_b64 s[0:1], -1
.LBB20_473:
	s_andn2_b64 vcc, exec, s[20:21]
	s_cbranch_vccnz .LBB20_486
; %bb.474:
	v_cmp_lt_i16_e32 vcc, 14, v9
	s_cbranch_vccz .LBB20_477
; %bb.475:
	v_cmp_eq_u16_e32 vcc, 15, v9
	s_cbranch_vccz .LBB20_480
; %bb.476:
	global_load_ushort v2, v[0:1], off
	s_mov_b64 s[0:1], -1
	s_mov_b64 s[18:19], 0
	s_waitcnt vmcnt(0)
	v_lshlrev_b32_e32 v2, 16, v2
	s_branch .LBB20_481
.LBB20_477:
	s_mov_b64 s[20:21], -1
                                        ; implicit-def: $vgpr2
	s_branch .LBB20_482
.LBB20_478:
	s_or_saveexec_b64 s[20:21], s[20:21]
	v_mov_b32_e32 v2, s26
	s_xor_b64 exec, exec, s[20:21]
	s_cbranch_execz .LBB20_459
.LBB20_479:
	v_cmp_ne_u16_e32 vcc, 0, v3
	s_andn2_b64 s[0:1], s[0:1], exec
	s_and_b64 s[24:25], vcc, exec
	v_mov_b32_e32 v2, 0
	s_or_b64 s[0:1], s[0:1], s[24:25]
	s_or_b64 exec, exec, s[20:21]
	s_and_saveexec_b64 s[20:21], s[0:1]
	s_cbranch_execnz .LBB20_460
	s_branch .LBB20_461
.LBB20_480:
	s_mov_b64 s[18:19], -1
                                        ; implicit-def: $vgpr2
.LBB20_481:
	s_mov_b64 s[20:21], 0
.LBB20_482:
	s_and_b64 vcc, exec, s[20:21]
	s_cbranch_vccz .LBB20_486
; %bb.483:
	v_cmp_eq_u16_e32 vcc, 11, v9
	s_cbranch_vccz .LBB20_485
; %bb.484:
	global_load_ubyte v2, v[0:1], off
	s_mov_b64 s[0:1], -1
	s_mov_b64 s[18:19], 0
	s_waitcnt vmcnt(0)
	v_cmp_ne_u16_e32 vcc, 0, v2
	v_cndmask_b32_e64 v2, 0, 1.0, vcc
	s_branch .LBB20_486
.LBB20_485:
	s_mov_b64 s[18:19], -1
                                        ; implicit-def: $vgpr2
.LBB20_486:
	s_branch .LBB20_277
.LBB20_487:
	v_cmp_gt_i16_e32 vcc, 5, v9
	s_cbranch_vccnz .LBB20_492
; %bb.488:
	v_cmp_gt_i16_e32 vcc, 8, v9
	s_cbranch_vccnz .LBB20_493
; %bb.489:
	v_cmp_gt_i16_e32 vcc, 9, v9
	s_cbranch_vccnz .LBB20_494
; %bb.490:
	v_cmp_lt_i16_e32 vcc, 9, v9
	s_cbranch_vccz .LBB20_495
; %bb.491:
	global_load_dwordx2 v[2:3], v[0:1], off
	s_mov_b64 s[0:1], 0
	s_waitcnt vmcnt(0)
	v_cvt_f32_f64_e32 v2, v[2:3]
	s_branch .LBB20_496
.LBB20_492:
	s_mov_b64 s[0:1], -1
                                        ; implicit-def: $vgpr2
	s_branch .LBB20_514
.LBB20_493:
	s_mov_b64 s[0:1], -1
                                        ; implicit-def: $vgpr2
	s_branch .LBB20_502
.LBB20_494:
	s_mov_b64 s[0:1], -1
                                        ; implicit-def: $vgpr2
	s_branch .LBB20_499
.LBB20_495:
	s_mov_b64 s[0:1], -1
                                        ; implicit-def: $vgpr2
.LBB20_496:
	s_andn2_b64 vcc, exec, s[0:1]
	s_cbranch_vccnz .LBB20_498
; %bb.497:
	global_load_dword v2, v[0:1], off
.LBB20_498:
	s_mov_b64 s[0:1], 0
.LBB20_499:
	s_andn2_b64 vcc, exec, s[0:1]
	s_cbranch_vccnz .LBB20_501
; %bb.500:
	global_load_dword v2, v[0:1], off
	s_waitcnt vmcnt(0)
	v_cvt_f32_f16_e32 v2, v2
.LBB20_501:
	s_mov_b64 s[0:1], 0
.LBB20_502:
	s_andn2_b64 vcc, exec, s[0:1]
	s_cbranch_vccnz .LBB20_513
; %bb.503:
	v_cmp_gt_i16_e32 vcc, 6, v9
	s_cbranch_vccnz .LBB20_506
; %bb.504:
	v_cmp_lt_i16_e32 vcc, 6, v9
	s_cbranch_vccz .LBB20_507
; %bb.505:
	global_load_dwordx2 v[2:3], v[0:1], off
	s_mov_b64 s[0:1], 0
	s_waitcnt vmcnt(0)
	v_cvt_f32_f64_e32 v2, v[2:3]
	s_branch .LBB20_508
.LBB20_506:
	s_mov_b64 s[0:1], -1
                                        ; implicit-def: $vgpr2
	s_branch .LBB20_511
.LBB20_507:
	s_mov_b64 s[0:1], -1
                                        ; implicit-def: $vgpr2
.LBB20_508:
	s_andn2_b64 vcc, exec, s[0:1]
	s_cbranch_vccnz .LBB20_510
; %bb.509:
	global_load_dword v2, v[0:1], off
.LBB20_510:
	s_mov_b64 s[0:1], 0
.LBB20_511:
	s_andn2_b64 vcc, exec, s[0:1]
	s_cbranch_vccnz .LBB20_513
; %bb.512:
	global_load_ushort v2, v[0:1], off
	s_waitcnt vmcnt(0)
	v_cvt_f32_f16_e32 v2, v2
.LBB20_513:
	s_mov_b64 s[0:1], 0
.LBB20_514:
	s_andn2_b64 vcc, exec, s[0:1]
	s_cbranch_vccnz .LBB20_534
; %bb.515:
	v_cmp_gt_i16_e32 vcc, 2, v9
	s_cbranch_vccnz .LBB20_519
; %bb.516:
	v_cmp_gt_i16_e32 vcc, 3, v9
	s_cbranch_vccnz .LBB20_520
; %bb.517:
	v_cmp_lt_i16_e32 vcc, 3, v9
	s_cbranch_vccz .LBB20_521
; %bb.518:
	global_load_dwordx2 v[2:3], v[0:1], off
	s_mov_b64 s[0:1], 0
	s_waitcnt vmcnt(0)
	v_xor_b32_e32 v5, v2, v3
	v_ffbh_i32_e32 v4, v3
	v_ashrrev_i32_e32 v5, 31, v5
	v_add_u32_e32 v4, -1, v4
	v_add_u32_e32 v5, 32, v5
	v_min_u32_e32 v4, v4, v5
	v_lshlrev_b64 v[2:3], v4, v[2:3]
	v_min_u32_e32 v2, 1, v2
	v_or_b32_e32 v2, v3, v2
	v_cvt_f32_i32_e32 v2, v2
	v_sub_u32_e32 v3, 32, v4
	v_ldexp_f32 v2, v2, v3
	s_branch .LBB20_522
.LBB20_519:
	s_mov_b64 s[0:1], -1
                                        ; implicit-def: $vgpr2
	s_branch .LBB20_528
.LBB20_520:
	s_mov_b64 s[0:1], -1
                                        ; implicit-def: $vgpr2
	s_branch .LBB20_525
.LBB20_521:
	s_mov_b64 s[0:1], -1
                                        ; implicit-def: $vgpr2
.LBB20_522:
	s_andn2_b64 vcc, exec, s[0:1]
	s_cbranch_vccnz .LBB20_524
; %bb.523:
	global_load_dword v2, v[0:1], off
	s_waitcnt vmcnt(0)
	v_cvt_f32_i32_e32 v2, v2
.LBB20_524:
	s_mov_b64 s[0:1], 0
.LBB20_525:
	s_andn2_b64 vcc, exec, s[0:1]
	s_cbranch_vccnz .LBB20_527
; %bb.526:
	global_load_sshort v2, v[0:1], off
	s_waitcnt vmcnt(0)
	v_cvt_f32_i32_e32 v2, v2
.LBB20_527:
	s_mov_b64 s[0:1], 0
.LBB20_528:
	s_andn2_b64 vcc, exec, s[0:1]
	s_cbranch_vccnz .LBB20_534
; %bb.529:
	v_cmp_lt_i16_e32 vcc, 0, v9
	s_cbranch_vccz .LBB20_531
; %bb.530:
	global_load_sbyte v2, v[0:1], off
	s_mov_b64 s[0:1], 0
	s_waitcnt vmcnt(0)
	v_cvt_f32_i32_e32 v2, v2
	s_branch .LBB20_532
.LBB20_531:
	s_mov_b64 s[0:1], -1
                                        ; implicit-def: $vgpr2
.LBB20_532:
	s_andn2_b64 vcc, exec, s[0:1]
	s_cbranch_vccnz .LBB20_534
; %bb.533:
	global_load_ubyte v0, v[0:1], off
	s_waitcnt vmcnt(0)
	v_cvt_f32_ubyte0_e32 v2, v0
.LBB20_534:
	s_branch .LBB20_278
.LBB20_535:
	s_mov_b64 s[24:25], 0
                                        ; implicit-def: $vgpr8
	s_mov_b64 s[0:1], s[6:7]
.LBB20_536:
	s_andn2_b64 s[20:21], s[6:7], exec
	s_and_b64 s[0:1], s[0:1], exec
	s_or_b64 s[20:21], s[20:21], s[0:1]
	s_andn2_b64 s[0:1], s[14:15], exec
	s_and_b64 s[18:19], s[18:19], exec
	s_or_b64 s[18:19], s[0:1], s[18:19]
	s_orn2_b64 s[0:1], s[24:25], exec
.LBB20_537:
	s_or_b64 exec, exec, s[22:23]
	s_mov_b64 s[24:25], 0
	s_mov_b64 s[26:27], 0
	;; [unrolled: 1-line block ×3, first 2 shown]
                                        ; implicit-def: $vgpr0_vgpr1
                                        ; implicit-def: $vgpr4
	s_and_saveexec_b64 s[22:23], s[0:1]
	s_cbranch_execz .LBB20_894
; %bb.538:
	v_cmp_gt_i32_e32 vcc, s33, v8
	s_mov_b64 s[34:35], -1
	s_mov_b64 s[0:1], s[18:19]
	s_mov_b64 s[28:29], s[20:21]
	s_and_saveexec_b64 s[24:25], vcc
	s_cbranch_execz .LBB20_808
; %bb.539:
	v_mul_lo_u32 v0, v8, s13
	v_ashrrev_i32_e32 v1, 31, v0
	s_waitcnt vmcnt(0)
	v_mov_b32_e32 v2, s11
	v_add_co_u32_e32 v0, vcc, s10, v0
	v_addc_co_u32_e32 v1, vcc, v2, v1, vcc
	v_cmp_gt_i16_e32 vcc, 11, v9
	s_cbranch_vccnz .LBB20_546
; %bb.540:
	v_cmp_lt_i16_e32 vcc, 25, v9
	s_cbranch_vccz .LBB20_547
; %bb.541:
	v_cmp_lt_i16_e32 vcc, 28, v9
	s_cbranch_vccz .LBB20_548
	;; [unrolled: 3-line block ×4, first 2 shown]
; %bb.544:
	v_cmp_eq_u16_e32 vcc, 46, v9
	s_mov_b64 s[28:29], 0
	s_cbranch_vccz .LBB20_555
; %bb.545:
	global_load_dword v2, v[0:1], off
	s_mov_b64 s[0:1], -1
	s_waitcnt vmcnt(0)
	v_lshlrev_b32_e32 v2, 16, v2
	s_branch .LBB20_556
.LBB20_546:
	s_mov_b64 s[28:29], -1
	s_mov_b64 s[0:1], 0
                                        ; implicit-def: $vgpr2
	s_mov_b64 s[26:27], s[18:19]
	s_branch .LBB20_621
.LBB20_547:
	s_mov_b64 s[28:29], -1
	s_mov_b64 s[0:1], 0
	s_mov_b64 s[26:27], s[18:19]
                                        ; implicit-def: $vgpr2
	s_branch .LBB20_585
.LBB20_548:
	s_mov_b64 s[28:29], -1
	s_mov_b64 s[0:1], 0
	s_mov_b64 s[26:27], s[18:19]
                                        ; implicit-def: $vgpr2
	s_branch .LBB20_566
.LBB20_549:
	s_mov_b64 s[28:29], -1
	s_mov_b64 s[0:1], 0
	s_mov_b64 s[26:27], s[18:19]
                                        ; implicit-def: $vgpr2
	s_branch .LBB20_561
.LBB20_550:
	s_or_saveexec_b64 s[26:27], s[26:27]
                                        ; implicit-def: $sgpr28
	s_xor_b64 exec, exec, s[26:27]
	s_cbranch_execz .LBB20_335
.LBB20_551:
	s_mov_b32 s28, 0x46000000
	v_add_f32_e64 v1, |v0|, s28
	v_and_b32_e32 v1, 0xff, v1
	v_cmp_ne_u32_e32 vcc, 0, v1
	s_andn2_b64 s[24:25], s[24:25], exec
	s_and_b64 s[30:31], vcc, exec
	s_mov_b32 s28, 0
	s_or_b64 s[24:25], s[24:25], s[30:31]
	s_or_b64 exec, exec, s[26:27]
	v_mov_b32_e32 v4, s28
	s_and_saveexec_b64 s[26:27], s[24:25]
	s_cbranch_execnz .LBB20_336
	s_branch .LBB20_337
.LBB20_552:
	s_mov_b64 s[28:29], -1
	s_mov_b64 s[0:1], 0
	s_mov_b64 s[26:27], s[18:19]
                                        ; implicit-def: $vgpr2
	s_branch .LBB20_556
.LBB20_553:
	s_or_saveexec_b64 s[26:27], s[26:27]
                                        ; implicit-def: $sgpr28
	s_xor_b64 exec, exec, s[26:27]
	s_cbranch_execz .LBB20_348
.LBB20_554:
	s_mov_b32 s28, 0x42800000
	v_add_f32_e64 v1, |v0|, s28
	v_and_b32_e32 v1, 0xff, v1
	v_cmp_ne_u32_e32 vcc, 0, v1
	s_andn2_b64 s[24:25], s[24:25], exec
	s_and_b64 s[30:31], vcc, exec
	s_mov_b32 s28, 0
	s_or_b64 s[24:25], s[24:25], s[30:31]
	s_or_b64 exec, exec, s[26:27]
	v_mov_b32_e32 v4, s28
	s_and_saveexec_b64 s[26:27], s[24:25]
	s_cbranch_execnz .LBB20_349
	s_branch .LBB20_350
.LBB20_555:
	s_mov_b64 s[26:27], -1
                                        ; implicit-def: $vgpr2
	s_mov_b64 s[0:1], 0
.LBB20_556:
	s_and_b64 vcc, exec, s[28:29]
	s_cbranch_vccz .LBB20_560
; %bb.557:
	v_cmp_eq_u16_e32 vcc, 44, v9
	s_cbranch_vccz .LBB20_559
; %bb.558:
	global_load_ubyte v2, v[0:1], off
	s_movk_i32 s26, 0xff
	v_mov_b32_e32 v3, 0x7f800001
	v_mov_b32_e32 v4, 0x400000
	s_mov_b64 s[0:1], -1
	s_waitcnt vmcnt(0)
	v_lshlrev_b32_e32 v5, 23, v2
	v_cmp_ne_u32_e32 vcc, s26, v2
	v_cndmask_b32_e32 v3, v3, v5, vcc
	v_cmp_ne_u32_e32 vcc, 0, v2
	v_cndmask_b32_e32 v2, v4, v3, vcc
	s_mov_b64 s[26:27], 0
	s_branch .LBB20_560
.LBB20_559:
	s_mov_b64 s[26:27], -1
                                        ; implicit-def: $vgpr2
.LBB20_560:
	s_mov_b64 s[28:29], 0
.LBB20_561:
	s_and_b64 vcc, exec, s[28:29]
	s_cbranch_vccz .LBB20_565
; %bb.562:
	v_cmp_eq_u16_e32 vcc, 29, v9
	s_cbranch_vccz .LBB20_564
; %bb.563:
	global_load_dwordx2 v[2:3], v[0:1], off
	s_mov_b64 s[0:1], -1
	s_mov_b64 s[26:27], 0
	s_mov_b64 s[28:29], 0
	s_waitcnt vmcnt(0)
	v_ffbh_u32_e32 v4, v3
	v_min_u32_e32 v4, 32, v4
	v_lshlrev_b64 v[2:3], v4, v[2:3]
	v_min_u32_e32 v2, 1, v2
	v_or_b32_e32 v2, v3, v2
	v_cvt_f32_u32_e32 v2, v2
	v_sub_u32_e32 v3, 32, v4
	v_ldexp_f32 v2, v2, v3
	s_branch .LBB20_566
.LBB20_564:
	s_mov_b64 s[26:27], -1
                                        ; implicit-def: $vgpr2
.LBB20_565:
	s_mov_b64 s[28:29], 0
.LBB20_566:
	s_and_b64 vcc, exec, s[28:29]
	s_cbranch_vccz .LBB20_584
; %bb.567:
	v_cmp_gt_i16_e32 vcc, 27, v9
	s_cbranch_vccnz .LBB20_570
; %bb.568:
	v_cmp_lt_i16_e32 vcc, 27, v9
	s_cbranch_vccz .LBB20_571
; %bb.569:
	global_load_dword v2, v[0:1], off
	s_mov_b64 s[0:1], 0
	s_waitcnt vmcnt(0)
	v_cvt_f32_u32_e32 v2, v2
	s_branch .LBB20_572
.LBB20_570:
	s_mov_b64 s[0:1], -1
                                        ; implicit-def: $vgpr2
	s_branch .LBB20_575
.LBB20_571:
	s_mov_b64 s[0:1], -1
                                        ; implicit-def: $vgpr2
.LBB20_572:
	s_andn2_b64 vcc, exec, s[0:1]
	s_cbranch_vccnz .LBB20_574
; %bb.573:
	global_load_ushort v2, v[0:1], off
	s_waitcnt vmcnt(0)
	v_cvt_f32_u32_e32 v2, v2
.LBB20_574:
	s_mov_b64 s[0:1], 0
.LBB20_575:
	s_andn2_b64 vcc, exec, s[0:1]
	s_cbranch_vccnz .LBB20_583
; %bb.576:
	global_load_ubyte v3, v[0:1], off
	s_movk_i32 s0, 0x7f
                                        ; implicit-def: $sgpr34
	s_waitcnt vmcnt(0)
	v_cmp_lt_i16_e32 vcc, s0, v3
	s_mov_b64 s[0:1], 0
	s_and_saveexec_b64 s[28:29], vcc
	s_xor_b64 s[28:29], exec, s[28:29]
	s_cbranch_execz .LBB20_597
; %bb.577:
	s_movk_i32 s0, 0x80
	v_cmp_eq_u16_e32 vcc, s0, v3
	s_mov_b64 s[0:1], -1
                                        ; implicit-def: $sgpr34
	s_and_saveexec_b64 s[30:31], vcc
; %bb.578:
	s_mov_b32 s34, 0x7f800001
	s_xor_b64 s[0:1], exec, -1
; %bb.579:
	s_or_b64 exec, exec, s[30:31]
	s_and_b64 s[0:1], s[0:1], exec
	s_or_saveexec_b64 s[28:29], s[28:29]
	v_mov_b32_e32 v2, s34
	s_xor_b64 exec, exec, s[28:29]
	s_cbranch_execnz .LBB20_598
.LBB20_580:
	s_or_b64 exec, exec, s[28:29]
	s_and_saveexec_b64 s[28:29], s[0:1]
	s_cbranch_execz .LBB20_582
.LBB20_581:
	v_lshlrev_b32_e32 v2, 24, v3
	v_and_b32_e32 v3, 0xffff, v3
	v_and_b32_e32 v4, 7, v3
	v_ffbh_u32_e32 v6, v4
	v_min_u32_e32 v6, 32, v6
	v_subrev_u32_e32 v7, 28, v6
	v_bfe_u32 v5, v3, 3, 4
	v_lshlrev_b32_e32 v3, v7, v3
	v_sub_u32_e32 v6, 29, v6
	v_and_b32_e32 v3, 7, v3
	v_cmp_eq_u32_e32 vcc, 0, v5
	v_cndmask_b32_e32 v5, v5, v6, vcc
	v_cndmask_b32_e32 v3, v4, v3, vcc
	v_mov_b32_e32 v4, 0x3b800000
	v_lshlrev_b32_e32 v3, 20, v3
	v_and_b32_e32 v2, 0x80000000, v2
	v_lshl_add_u32 v4, v5, 23, v4
	v_or3_b32 v2, v2, v4, v3
.LBB20_582:
	s_or_b64 exec, exec, s[28:29]
.LBB20_583:
	s_mov_b64 s[0:1], -1
.LBB20_584:
	s_mov_b64 s[28:29], 0
.LBB20_585:
	s_and_b64 vcc, exec, s[28:29]
	s_cbranch_vccz .LBB20_620
; %bb.586:
	v_cmp_lt_i16_e32 vcc, 22, v9
	s_cbranch_vccz .LBB20_596
; %bb.587:
	v_cmp_gt_i16_e32 vcc, 24, v9
	s_cbranch_vccnz .LBB20_599
; %bb.588:
	v_cmp_lt_i16_e32 vcc, 24, v9
	s_cbranch_vccz .LBB20_600
; %bb.589:
	global_load_ubyte v3, v[0:1], off
	s_movk_i32 s0, 0x7f
                                        ; implicit-def: $sgpr34
	s_waitcnt vmcnt(0)
	v_cmp_lt_i16_e32 vcc, s0, v3
	s_mov_b64 s[0:1], 0
	s_and_saveexec_b64 s[28:29], vcc
	s_xor_b64 s[28:29], exec, s[28:29]
	s_cbranch_execz .LBB20_612
; %bb.590:
	s_movk_i32 s0, 0x80
	v_cmp_eq_u16_e32 vcc, s0, v3
	s_mov_b64 s[0:1], -1
                                        ; implicit-def: $sgpr34
	s_and_saveexec_b64 s[30:31], vcc
; %bb.591:
	s_mov_b32 s34, 0x7f800001
	s_xor_b64 s[0:1], exec, -1
; %bb.592:
	s_or_b64 exec, exec, s[30:31]
	s_and_b64 s[0:1], s[0:1], exec
	s_or_saveexec_b64 s[28:29], s[28:29]
	v_mov_b32_e32 v2, s34
	s_xor_b64 exec, exec, s[28:29]
	s_cbranch_execnz .LBB20_613
.LBB20_593:
	s_or_b64 exec, exec, s[28:29]
	s_and_saveexec_b64 s[28:29], s[0:1]
	s_cbranch_execz .LBB20_595
.LBB20_594:
	v_lshlrev_b32_e32 v2, 24, v3
	v_and_b32_e32 v3, 0xffff, v3
	v_and_b32_e32 v4, 3, v3
	v_ffbh_u32_e32 v6, v4
	v_min_u32_e32 v6, 32, v6
	v_subrev_u32_e32 v7, 29, v6
	v_bfe_u32 v5, v3, 2, 5
	v_lshlrev_b32_e32 v3, v7, v3
	v_sub_u32_e32 v6, 30, v6
	v_and_b32_e32 v3, 3, v3
	v_cmp_eq_u32_e32 vcc, 0, v5
	v_cndmask_b32_e32 v5, v5, v6, vcc
	v_cndmask_b32_e32 v3, v4, v3, vcc
	v_mov_b32_e32 v4, 0x37800000
	v_lshlrev_b32_e32 v3, 21, v3
	v_and_b32_e32 v2, 0x80000000, v2
	v_lshl_add_u32 v4, v5, 23, v4
	v_or3_b32 v2, v2, v4, v3
.LBB20_595:
	s_or_b64 exec, exec, s[28:29]
	s_mov_b64 s[0:1], 0
	s_branch .LBB20_601
.LBB20_596:
	s_mov_b64 s[28:29], -1
                                        ; implicit-def: $vgpr2
	s_branch .LBB20_607
.LBB20_597:
	s_or_saveexec_b64 s[28:29], s[28:29]
	v_mov_b32_e32 v2, s34
	s_xor_b64 exec, exec, s[28:29]
	s_cbranch_execz .LBB20_580
.LBB20_598:
	v_cmp_ne_u16_e32 vcc, 0, v3
	s_andn2_b64 s[0:1], s[0:1], exec
	s_and_b64 s[30:31], vcc, exec
	v_mov_b32_e32 v2, 0
	s_or_b64 s[0:1], s[0:1], s[30:31]
	s_or_b64 exec, exec, s[28:29]
	s_and_saveexec_b64 s[28:29], s[0:1]
	s_cbranch_execnz .LBB20_581
	s_branch .LBB20_582
.LBB20_599:
	s_mov_b64 s[0:1], -1
                                        ; implicit-def: $vgpr2
	s_branch .LBB20_604
.LBB20_600:
	s_mov_b64 s[0:1], -1
                                        ; implicit-def: $vgpr2
.LBB20_601:
	s_and_b64 vcc, exec, s[0:1]
	s_cbranch_vccz .LBB20_603
; %bb.602:
	global_load_ubyte v2, v[0:1], off
	s_mov_b32 s0, 0x7f800000
	s_waitcnt vmcnt(0)
	v_lshlrev_b32_e32 v2, 24, v2
	v_and_b32_e32 v3, 0x7f000000, v2
	v_ffbh_u32_e32 v4, v3
	v_min_u32_e32 v4, 32, v4
	v_sub_u32_e64 v4, v4, 4 clamp
	v_lshlrev_b32_e32 v6, v4, v3
	v_lshlrev_b32_e32 v4, 23, v4
	v_lshrrev_b32_e32 v6, 4, v6
	v_add_u32_e32 v5, 0x1000000, v3
	v_sub_u32_e32 v4, v6, v4
	v_ashrrev_i32_e32 v5, 8, v5
	v_add_u32_e32 v4, 0x3c000000, v4
	v_and_or_b32 v4, v5, s0, v4
	v_cmp_ne_u32_e32 vcc, 0, v3
	v_cndmask_b32_e32 v3, 0, v4, vcc
	s_brev_b32 s0, 1
	v_and_or_b32 v2, v2, s0, v3
.LBB20_603:
	s_mov_b64 s[0:1], 0
.LBB20_604:
	s_andn2_b64 vcc, exec, s[0:1]
	s_cbranch_vccnz .LBB20_606
; %bb.605:
	global_load_ubyte v2, v[0:1], off
	s_movk_i32 s0, 0x7f00
	s_brev_b32 s1, 16
	s_waitcnt vmcnt(0)
	v_lshlrev_b16_e32 v3, 8, v2
	v_lshlrev_b32_e32 v2, 25, v2
	v_lshrrev_b32_e32 v4, 4, v2
	v_and_or_b32 v5, v3, s0, 0.5
	v_or_b32_e32 v4, 0x70000000, v4
	v_add_f32_e32 v5, -0.5, v5
	v_mul_f32_e32 v4, 0x7800000, v4
	v_cmp_gt_u32_e32 vcc, s1, v2
	v_bfe_i32 v3, v3, 0, 16
	v_cndmask_b32_e32 v2, v4, v5, vcc
	s_brev_b32 s0, 1
	v_and_or_b32 v2, v3, s0, v2
.LBB20_606:
	s_mov_b64 s[28:29], 0
	s_mov_b64 s[0:1], -1
.LBB20_607:
	s_andn2_b64 vcc, exec, s[28:29]
	s_cbranch_vccnz .LBB20_620
; %bb.608:
	v_cmp_lt_i16_e32 vcc, 14, v9
	s_cbranch_vccz .LBB20_611
; %bb.609:
	v_cmp_eq_u16_e32 vcc, 15, v9
	s_cbranch_vccz .LBB20_614
; %bb.610:
	global_load_ushort v2, v[0:1], off
	s_mov_b64 s[0:1], -1
	s_mov_b64 s[26:27], 0
	s_waitcnt vmcnt(0)
	v_lshlrev_b32_e32 v2, 16, v2
	s_branch .LBB20_615
.LBB20_611:
	s_mov_b64 s[28:29], -1
                                        ; implicit-def: $vgpr2
	s_branch .LBB20_616
.LBB20_612:
	s_or_saveexec_b64 s[28:29], s[28:29]
	v_mov_b32_e32 v2, s34
	s_xor_b64 exec, exec, s[28:29]
	s_cbranch_execz .LBB20_593
.LBB20_613:
	v_cmp_ne_u16_e32 vcc, 0, v3
	s_andn2_b64 s[0:1], s[0:1], exec
	s_and_b64 s[30:31], vcc, exec
	v_mov_b32_e32 v2, 0
	s_or_b64 s[0:1], s[0:1], s[30:31]
	s_or_b64 exec, exec, s[28:29]
	s_and_saveexec_b64 s[28:29], s[0:1]
	s_cbranch_execnz .LBB20_594
	s_branch .LBB20_595
.LBB20_614:
	s_mov_b64 s[26:27], -1
                                        ; implicit-def: $vgpr2
.LBB20_615:
	s_mov_b64 s[28:29], 0
.LBB20_616:
	s_and_b64 vcc, exec, s[28:29]
	s_cbranch_vccz .LBB20_620
; %bb.617:
	v_cmp_eq_u16_e32 vcc, 11, v9
	s_cbranch_vccz .LBB20_619
; %bb.618:
	global_load_ubyte v2, v[0:1], off
	s_mov_b64 s[0:1], -1
	s_mov_b64 s[26:27], 0
	s_waitcnt vmcnt(0)
	v_cmp_ne_u16_e32 vcc, 0, v2
	v_cndmask_b32_e64 v2, 0, 1.0, vcc
	s_branch .LBB20_620
.LBB20_619:
	s_mov_b64 s[26:27], -1
                                        ; implicit-def: $vgpr2
.LBB20_620:
	s_mov_b64 s[28:29], 0
.LBB20_621:
	s_and_b64 vcc, exec, s[28:29]
	s_cbranch_vccz .LBB20_670
; %bb.622:
	v_cmp_gt_i16_e32 vcc, 5, v9
	s_cbranch_vccnz .LBB20_627
; %bb.623:
	v_cmp_gt_i16_e32 vcc, 8, v9
	s_cbranch_vccnz .LBB20_628
	;; [unrolled: 3-line block ×3, first 2 shown]
; %bb.625:
	v_cmp_lt_i16_e32 vcc, 9, v9
	s_cbranch_vccz .LBB20_630
; %bb.626:
	global_load_dwordx2 v[2:3], v[0:1], off
	s_mov_b64 s[0:1], 0
	s_waitcnt vmcnt(0)
	v_cvt_f32_f64_e32 v2, v[2:3]
	s_branch .LBB20_631
.LBB20_627:
	s_mov_b64 s[0:1], -1
                                        ; implicit-def: $vgpr2
	s_branch .LBB20_649
.LBB20_628:
	s_mov_b64 s[0:1], -1
                                        ; implicit-def: $vgpr2
	s_branch .LBB20_637
.LBB20_629:
	s_mov_b64 s[0:1], -1
                                        ; implicit-def: $vgpr2
	s_branch .LBB20_634
.LBB20_630:
	s_mov_b64 s[0:1], -1
                                        ; implicit-def: $vgpr2
.LBB20_631:
	s_andn2_b64 vcc, exec, s[0:1]
	s_cbranch_vccnz .LBB20_633
; %bb.632:
	global_load_dword v2, v[0:1], off
.LBB20_633:
	s_mov_b64 s[0:1], 0
.LBB20_634:
	s_andn2_b64 vcc, exec, s[0:1]
	s_cbranch_vccnz .LBB20_636
; %bb.635:
	global_load_dword v2, v[0:1], off
	s_waitcnt vmcnt(0)
	v_cvt_f32_f16_e32 v2, v2
.LBB20_636:
	s_mov_b64 s[0:1], 0
.LBB20_637:
	s_andn2_b64 vcc, exec, s[0:1]
	s_cbranch_vccnz .LBB20_648
; %bb.638:
	v_cmp_gt_i16_e32 vcc, 6, v9
	s_cbranch_vccnz .LBB20_641
; %bb.639:
	v_cmp_lt_i16_e32 vcc, 6, v9
	s_cbranch_vccz .LBB20_642
; %bb.640:
	global_load_dwordx2 v[2:3], v[0:1], off
	s_mov_b64 s[0:1], 0
	s_waitcnt vmcnt(0)
	v_cvt_f32_f64_e32 v2, v[2:3]
	s_branch .LBB20_643
.LBB20_641:
	s_mov_b64 s[0:1], -1
                                        ; implicit-def: $vgpr2
	s_branch .LBB20_646
.LBB20_642:
	s_mov_b64 s[0:1], -1
                                        ; implicit-def: $vgpr2
.LBB20_643:
	s_andn2_b64 vcc, exec, s[0:1]
	s_cbranch_vccnz .LBB20_645
; %bb.644:
	global_load_dword v2, v[0:1], off
.LBB20_645:
	s_mov_b64 s[0:1], 0
.LBB20_646:
	s_andn2_b64 vcc, exec, s[0:1]
	s_cbranch_vccnz .LBB20_648
; %bb.647:
	global_load_ushort v2, v[0:1], off
	s_waitcnt vmcnt(0)
	v_cvt_f32_f16_e32 v2, v2
.LBB20_648:
	s_mov_b64 s[0:1], 0
.LBB20_649:
	s_andn2_b64 vcc, exec, s[0:1]
	s_cbranch_vccnz .LBB20_669
; %bb.650:
	v_cmp_gt_i16_e32 vcc, 2, v9
	s_cbranch_vccnz .LBB20_654
; %bb.651:
	v_cmp_gt_i16_e32 vcc, 3, v9
	s_cbranch_vccnz .LBB20_655
; %bb.652:
	v_cmp_lt_i16_e32 vcc, 3, v9
	s_cbranch_vccz .LBB20_656
; %bb.653:
	global_load_dwordx2 v[2:3], v[0:1], off
	s_mov_b64 s[0:1], 0
	s_waitcnt vmcnt(0)
	v_xor_b32_e32 v5, v2, v3
	v_ffbh_i32_e32 v4, v3
	v_ashrrev_i32_e32 v5, 31, v5
	v_add_u32_e32 v4, -1, v4
	v_add_u32_e32 v5, 32, v5
	v_min_u32_e32 v4, v4, v5
	v_lshlrev_b64 v[2:3], v4, v[2:3]
	v_min_u32_e32 v2, 1, v2
	v_or_b32_e32 v2, v3, v2
	v_cvt_f32_i32_e32 v2, v2
	v_sub_u32_e32 v3, 32, v4
	v_ldexp_f32 v2, v2, v3
	s_branch .LBB20_657
.LBB20_654:
	s_mov_b64 s[0:1], -1
                                        ; implicit-def: $vgpr2
	s_branch .LBB20_663
.LBB20_655:
	s_mov_b64 s[0:1], -1
                                        ; implicit-def: $vgpr2
	s_branch .LBB20_660
.LBB20_656:
	s_mov_b64 s[0:1], -1
                                        ; implicit-def: $vgpr2
.LBB20_657:
	s_andn2_b64 vcc, exec, s[0:1]
	s_cbranch_vccnz .LBB20_659
; %bb.658:
	global_load_dword v2, v[0:1], off
	s_waitcnt vmcnt(0)
	v_cvt_f32_i32_e32 v2, v2
.LBB20_659:
	s_mov_b64 s[0:1], 0
.LBB20_660:
	s_andn2_b64 vcc, exec, s[0:1]
	s_cbranch_vccnz .LBB20_662
; %bb.661:
	global_load_sshort v2, v[0:1], off
	s_waitcnt vmcnt(0)
	v_cvt_f32_i32_e32 v2, v2
.LBB20_662:
	s_mov_b64 s[0:1], 0
.LBB20_663:
	s_andn2_b64 vcc, exec, s[0:1]
	s_cbranch_vccnz .LBB20_669
; %bb.664:
	v_cmp_lt_i16_e32 vcc, 0, v9
	s_cbranch_vccz .LBB20_666
; %bb.665:
	global_load_sbyte v2, v[0:1], off
	s_mov_b64 s[0:1], 0
	s_waitcnt vmcnt(0)
	v_cvt_f32_i32_e32 v2, v2
	s_branch .LBB20_667
.LBB20_666:
	s_mov_b64 s[0:1], -1
                                        ; implicit-def: $vgpr2
.LBB20_667:
	s_andn2_b64 vcc, exec, s[0:1]
	s_cbranch_vccnz .LBB20_669
; %bb.668:
	global_load_ubyte v0, v[0:1], off
	s_waitcnt vmcnt(0)
	v_cvt_f32_ubyte0_e32 v2, v0
.LBB20_669:
	s_mov_b64 s[0:1], -1
.LBB20_670:
	s_andn2_b64 vcc, exec, s[0:1]
	s_cbranch_vccnz .LBB20_690
; %bb.671:
	s_waitcnt vmcnt(0)
	v_cmp_neq_f32_e32 vcc, 0, v2
	v_mov_b32_e32 v0, 0x7f800000
	s_and_saveexec_b64 s[28:29], vcc
	s_cbranch_execz .LBB20_683
; %bb.672:
	v_cmp_ngt_f32_e32 vcc, 0, v2
	v_mov_b32_e32 v0, 0x7fc00000
	s_and_saveexec_b64 s[30:31], vcc
	s_cbranch_execz .LBB20_682
; %bb.673:
	v_cmp_ge_f32_e32 vcc, 2.0, v2
                                        ; implicit-def: $vgpr0
	s_and_saveexec_b64 s[0:1], vcc
	s_xor_b64 s[34:35], exec, s[0:1]
	s_cbranch_execz .LBB20_679
; %bb.674:
	s_mov_b32 s0, 0x41000000
	v_mul_f32_e32 v0, 0.5, v2
	v_cmp_ge_f32_e32 vcc, s0, v2
                                        ; implicit-def: $vgpr3
                                        ; implicit-def: $vgpr1
	s_and_saveexec_b64 s[0:1], vcc
	s_xor_b64 s[0:1], exec, s[0:1]
	s_cbranch_execz .LBB20_676
; %bb.675:
	v_add_f32_e32 v1, -2.0, v0
	v_mov_b32_e32 v3, 0x24199b15
	v_fmac_f32_e32 v3, 0xa2a2e5b9, v1
	v_mov_b32_e32 v4, 0x22a2e5b9
	v_fmac_f32_e32 v4, v1, v3
	v_add_f32_e32 v4, 0xa58c275c, v4
	v_fma_f32 v3, v1, v4, -v3
	v_add_f32_e32 v3, 0x26f736c5, v3
	v_fma_f32 v4, v1, v3, -v4
	;; [unrolled: 2-line block ×23, first 2 shown]
	v_mul_f32_e32 v5, 0x3fb8aa3b, v2
	v_add_f32_e32 v3, 0x3d49f456, v3
	s_mov_b32 s36, 0x3fb8aa3b
	v_rndne_f32_e32 v6, v5
	v_fma_f32 v4, v1, v3, -v4
	v_sub_f32_e32 v7, v5, v6
	v_fma_f32 v5, v2, s36, -v5
	v_add_f32_e32 v4, 0xbdc25b82, v4
	v_fmac_f32_e32 v5, 0x32a5705f, v2
	v_fma_f32 v3, v1, v4, -v3
	v_add_f32_e32 v5, v7, v5
	v_add_f32_e32 v3, 0x3e2fbd64, v3
	v_exp_f32_e32 v5, v5
	v_cvt_i32_f32_e32 v6, v6
	v_fma_f32 v4, v1, v3, -v4
	v_add_f32_e32 v4, 0xbe9bff5e, v4
	v_fma_f32 v1, v1, v4, -v3
	s_mov_b32 s36, 0xc2ce8ed0
	v_add_f32_e32 v4, 0x3f2d4275, v1
	v_ldexp_f32 v1, v5, v6
	v_cmp_ngt_f32_e32 vcc, s36, v2
	s_mov_b32 s36, 0x42b17218
	v_cndmask_b32_e32 v1, 0, v1, vcc
	v_mov_b32_e32 v5, 0x7f800000
	v_cmp_nlt_f32_e32 vcc, s36, v2
	v_sub_f32_e32 v3, v4, v3
	v_cndmask_b32_e32 v1, v5, v1, vcc
	v_mul_f32_e32 v3, 0.5, v3
	v_mul_f32_e32 v3, v1, v3
.LBB20_676:
	s_andn2_saveexec_b64 s[36:37], s[0:1]
	s_cbranch_execz .LBB20_678
; %bb.677:
	s_mov_b32 s38, 0x42000000
	v_div_scale_f32 v1, s[0:1], v2, v2, s38
	v_rcp_f32_e32 v3, v1
	v_div_scale_f32 v4, vcc, s38, v2, s38
	s_mov_b32 s0, 0x3fb8aa3b
	v_fma_f32 v5, -v1, v3, 1.0
	v_fmac_f32_e32 v3, v5, v3
	v_mul_f32_e32 v5, v4, v3
	v_fma_f32 v6, -v1, v5, v4
	v_fmac_f32_e32 v5, v6, v3
	v_fma_f32 v1, -v1, v5, v4
	v_div_fmas_f32 v1, v1, v3, v5
	v_div_fixup_f32 v1, v1, v2, s38
	v_add_f32_e32 v1, -2.0, v1
	v_mov_b32_e32 v3, 0xa2b236d3
	v_fmac_f32_e32 v3, 0xa3056dbb, v1
	v_mov_b32_e32 v4, 0x23056dbb
	v_fmac_f32_e32 v4, v1, v3
	v_add_f32_e32 v4, 0x244df0c1, v4
	v_fma_f32 v3, v1, v4, -v3
	v_add_f32_e32 v3, 0x241f9ee8, v3
	v_fma_f32 v4, v1, v3, -v4
	;; [unrolled: 2-line block ×18, first 2 shown]
	v_mul_f32_e32 v5, 0x3fb8aa3b, v2
	v_add_f32_e32 v4, 0x345c003f, v4
	v_rndne_f32_e32 v6, v5
	v_fma_f32 v3, v1, v4, -v3
	v_sub_f32_e32 v7, v5, v6
	v_fma_f32 v5, v2, s0, -v5
	v_add_f32_e32 v3, 0x3642095e, v3
	v_fmac_f32_e32 v5, 0x32a5705f, v2
	v_fma_f32 v4, v1, v3, -v4
	v_add_f32_e32 v5, v7, v5
	v_add_f32_e32 v4, 0x38907d1c, v4
	v_exp_f32_e32 v5, v5
	v_cvt_i32_f32_e32 v6, v6
	v_fma_f32 v3, v1, v4, -v3
	v_add_f32_e32 v3, 0x3b5ccc65, v3
	v_fma_f32 v1, v1, v3, -v4
	s_mov_b32 s0, 0xc2ce8ed0
	v_add_f32_e32 v3, 0x3f4df315, v1
	v_ldexp_f32 v1, v5, v6
	v_cmp_ngt_f32_e32 vcc, s0, v2
	s_mov_b32 s0, 0x42b17218
	v_cndmask_b32_e32 v1, 0, v1, vcc
	v_mov_b32_e32 v5, 0x7f800000
	v_cmp_nlt_f32_e32 vcc, s0, v2
	s_mov_b32 s0, 0xf800000
	v_cndmask_b32_e32 v1, v5, v1, vcc
	v_mul_f32_e32 v5, 0x4f800000, v2
	v_cmp_gt_f32_e32 vcc, s0, v2
	v_cndmask_b32_e32 v5, v2, v5, vcc
	v_sqrt_f32_e32 v6, v5
	v_sub_f32_e32 v3, v3, v4
	v_mul_f32_e32 v3, 0.5, v3
	v_mul_f32_e32 v3, v1, v3
	v_add_u32_e32 v4, -1, v6
	v_fma_f32 v7, -v4, v6, v5
	v_cmp_ge_f32_e64 s[0:1], 0, v7
	v_add_u32_e32 v7, 1, v6
	v_cndmask_b32_e64 v4, v6, v4, s[0:1]
	v_fma_f32 v6, -v7, v6, v5
	v_cmp_lt_f32_e64 s[0:1], 0, v6
	v_cndmask_b32_e64 v4, v4, v7, s[0:1]
	v_mul_f32_e32 v6, 0x37800000, v4
	v_cndmask_b32_e32 v4, v4, v6, vcc
	v_mov_b32_e32 v6, 0x260
	v_cmp_class_f32_e32 vcc, v5, v6
	v_cndmask_b32_e32 v4, v4, v5, vcc
	v_div_scale_f32 v5, s[0:1], v4, v4, v3
	v_rcp_f32_e32 v6, v5
	v_fma_f32 v7, -v5, v6, 1.0
	v_fmac_f32_e32 v6, v7, v6
	v_div_scale_f32 v7, vcc, v3, v4, v3
	v_mul_f32_e32 v11, v7, v6
	v_fma_f32 v12, -v5, v11, v7
	v_fmac_f32_e32 v11, v12, v6
	v_fma_f32 v5, -v5, v11, v7
	v_div_fmas_f32 v5, v5, v6, v11
	v_div_fixup_f32 v3, v5, v4, v3
.LBB20_678:
	s_or_b64 exec, exec, s[36:37]
	v_fma_f32 v2, v2, v2, -2.0
	v_mov_b32_e32 v4, 0x293fd856
	v_fmac_f32_e32 v4, 0x251e770f, v2
	v_mov_b32_e32 v5, 0xa51e770f
	v_fmac_f32_e32 v5, v2, v4
	v_add_f32_e32 v5, 0x2d3612e2, v5
	v_fma_f32 v4, v2, v5, -v4
	v_add_f32_e32 v4, 0x3102e09b, v4
	v_fma_f32 v5, v2, v4, -v5
	v_add_f32_e32 v5, 0x348815e7, v5
	v_fma_f32 v4, v2, v5, -v4
	v_add_f32_e32 v4, 0x37bfc808, v4
	v_fma_f32 v5, v2, v4, -v5
	v_add_f32_e32 v5, 0x3aa5c174, v5
	v_fma_f32 v4, v2, v5, -v4
	v_add_f32_e32 v4, 0x3d135fb3, v4
	v_fma_f32 v5, v2, v4, -v5
	v_add_f32_e32 v5, 0x3eb046c4, v5
	s_mov_b32 s0, 0x800000
	v_fma_f32 v2, v2, v5, -v4
	v_mov_b32_e32 v5, 0x4f800000
	v_cmp_gt_f32_e32 vcc, s0, v0
	v_cndmask_b32_e32 v5, 1.0, v5, vcc
	v_mul_f32_e32 v0, v0, v5
	v_log_f32_e32 v0, v0
	v_add_f32_e32 v2, 0xbf090b37, v2
	v_sub_f32_e32 v2, v2, v4
	s_mov_b32 s0, 0x3f317217
	v_mul_f32_e32 v4, 0x3f317217, v0
	v_fma_f32 v5, v0, s0, -v4
	v_fmac_f32_e32 v5, 0x3377d1cf, v0
	s_mov_b32 s0, 0x7f800000
	v_add_f32_e32 v4, v4, v5
	v_cmp_lt_f32_e64 s[0:1], |v0|, s0
	v_cndmask_b32_e64 v0, v0, v4, s[0:1]
	v_mov_b32_e32 v4, 0x41b17218
	v_cndmask_b32_e32 v4, 0, v4, vcc
	v_sub_f32_e32 v0, v0, v4
	v_mul_f32_e32 v0, v0, v3
	v_fma_f32 v0, v2, 0.5, -v0
	v_mul_f32_e32 v0, v1, v0
                                        ; implicit-def: $vgpr2
.LBB20_679:
	s_andn2_saveexec_b64 s[34:35], s[34:35]
	s_cbranch_execz .LBB20_681
; %bb.680:
	s_mov_b32 s36, 0x41000000
	v_div_scale_f32 v0, s[0:1], v2, v2, s36
	v_rcp_f32_e32 v1, v0
	v_div_scale_f32 v3, vcc, s36, v2, s36
	s_mov_b32 s0, 0xf800000
	v_fma_f32 v4, -v0, v1, 1.0
	v_fmac_f32_e32 v1, v4, v1
	v_mul_f32_e32 v4, v3, v1
	v_fma_f32 v5, -v0, v4, v3
	v_fmac_f32_e32 v4, v5, v1
	v_fma_f32 v0, -v0, v4, v3
	v_div_fmas_f32 v0, v0, v1, v4
	v_div_fixup_f32 v0, v0, v2, s36
	v_add_f32_e32 v0, -2.0, v0
	v_mov_b32_e32 v1, 0xa397f665
	v_fmac_f32_e32 v1, 0x22c38d2e, v0
	v_mov_b32_e32 v3, 0xa2c38d2e
	v_fmac_f32_e32 v3, v0, v1
	v_add_f32_e32 v3, 0x24704972, v3
	v_fma_f32 v1, v0, v3, -v1
	v_add_f32_e32 v1, 0xa5417ca4, v1
	v_fma_f32 v3, v0, v1, -v3
	;; [unrolled: 2-line block ×22, first 2 shown]
	v_mul_f32_e32 v1, 0x4f800000, v2
	v_cmp_gt_f32_e32 vcc, s0, v2
	v_cndmask_b32_e32 v1, v2, v1, vcc
	v_sqrt_f32_e32 v2, v1
	v_add_f32_e32 v0, 0x401c2ded, v0
	v_sub_f32_e32 v0, v0, v3
	v_mul_f32_e32 v0, 0.5, v0
	v_add_u32_e32 v3, -1, v2
	v_fma_f32 v4, -v3, v2, v1
	v_cmp_ge_f32_e64 s[0:1], 0, v4
	v_add_u32_e32 v4, 1, v2
	v_cndmask_b32_e64 v3, v2, v3, s[0:1]
	v_fma_f32 v2, -v4, v2, v1
	v_cmp_lt_f32_e64 s[0:1], 0, v2
	v_cndmask_b32_e64 v2, v3, v4, s[0:1]
	v_mul_f32_e32 v3, 0x37800000, v2
	v_cndmask_b32_e32 v2, v2, v3, vcc
	v_mov_b32_e32 v3, 0x260
	v_cmp_class_f32_e32 vcc, v1, v3
	v_cndmask_b32_e32 v1, v2, v1, vcc
	v_div_scale_f32 v2, s[0:1], v1, v1, v0
	v_rcp_f32_e32 v3, v2
	v_fma_f32 v4, -v2, v3, 1.0
	v_fmac_f32_e32 v3, v4, v3
	v_div_scale_f32 v4, vcc, v0, v1, v0
	v_mul_f32_e32 v5, v4, v3
	v_fma_f32 v6, -v2, v5, v4
	v_fmac_f32_e32 v5, v6, v3
	v_fma_f32 v2, -v2, v5, v4
	v_div_fmas_f32 v2, v2, v3, v5
	v_div_fixup_f32 v0, v2, v1, v0
.LBB20_681:
	s_or_b64 exec, exec, s[34:35]
.LBB20_682:
	s_or_b64 exec, exec, s[30:31]
.LBB20_683:
	s_or_b64 exec, exec, s[28:29]
	v_mul_lo_u32 v1, v8, s12
	v_ashrrev_i32_e32 v3, 31, v1
	v_mov_b32_e32 v4, s9
	v_add_co_u32_e32 v2, vcc, s8, v1
	v_mov_b32_e32 v1, 11
	v_addc_co_u32_e32 v3, vcc, v4, v3, vcc
	v_cmp_lt_i16_sdwa s[0:1], v10, v1 src0_sel:BYTE_0 src1_sel:DWORD
	s_and_b64 vcc, exec, s[0:1]
	s_cbranch_vccnz .LBB20_691
; %bb.684:
	v_mov_b32_e32 v1, 25
	v_cmp_gt_i16_sdwa s[0:1], v10, v1 src0_sel:BYTE_0 src1_sel:DWORD
	s_and_b64 vcc, exec, s[0:1]
	s_cbranch_vccz .LBB20_692
; %bb.685:
	v_mov_b32_e32 v1, 28
	v_cmp_gt_i16_sdwa s[0:1], v10, v1 src0_sel:BYTE_0 src1_sel:DWORD
	s_and_b64 vcc, exec, s[0:1]
	s_cbranch_vccz .LBB20_693
	;; [unrolled: 5-line block ×4, first 2 shown]
; %bb.688:
	v_mov_b32_e32 v1, 46
	v_cmp_eq_u16_sdwa s[28:29], v10, v1 src0_sel:BYTE_0 src1_sel:DWORD
	s_mov_b64 s[30:31], 0
	s_mov_b64 s[0:1], -1
	s_and_b64 vcc, exec, s[28:29]
	s_mov_b64 s[28:29], 0
	s_cbranch_vccz .LBB20_696
; %bb.689:
	v_bfe_u32 v1, v0, 16, 1
	s_movk_i32 s0, 0x7fff
	v_add3_u32 v1, v0, v1, s0
	v_lshrrev_b32_e32 v1, 16, v1
	v_mov_b32_e32 v4, 0x7fc0
	v_cmp_o_f32_e32 vcc, v0, v0
	v_cndmask_b32_e32 v1, v4, v1, vcc
	global_store_dword v[2:3], v1, off
	s_mov_b64 s[28:29], -1
	s_mov_b64 s[0:1], 0
	s_branch .LBB20_696
.LBB20_690:
	s_mov_b64 s[30:31], 0
                                        ; implicit-def: $vgpr8
	s_mov_b64 s[0:1], s[20:21]
	s_branch .LBB20_807
.LBB20_691:
	s_mov_b64 s[30:31], -1
	s_mov_b64 s[28:29], 0
	s_mov_b64 s[0:1], s[20:21]
	s_branch .LBB20_765
.LBB20_692:
	s_mov_b64 s[30:31], -1
	s_mov_b64 s[28:29], 0
	s_mov_b64 s[0:1], s[20:21]
	s_branch .LBB20_723
.LBB20_693:
	s_mov_b64 s[30:31], -1
	s_mov_b64 s[28:29], 0
	s_mov_b64 s[0:1], s[20:21]
	s_branch .LBB20_706
.LBB20_694:
	s_mov_b64 s[30:31], -1
	s_mov_b64 s[28:29], 0
	s_mov_b64 s[0:1], s[20:21]
	s_branch .LBB20_702
.LBB20_695:
	s_mov_b64 s[30:31], -1
	s_mov_b64 s[28:29], 0
	s_mov_b64 s[0:1], s[20:21]
.LBB20_696:
	s_and_b64 vcc, exec, s[30:31]
	s_cbranch_vccz .LBB20_701
; %bb.697:
	v_mov_b32_e32 v1, 44
	v_cmp_eq_u16_sdwa s[30:31], v10, v1 src0_sel:BYTE_0 src1_sel:DWORD
	s_mov_b64 s[0:1], -1
	s_and_b64 vcc, exec, s[30:31]
	s_cbranch_vccz .LBB20_701
; %bb.698:
	v_bfe_u32 v1, v0, 23, 8
	s_movk_i32 s0, 0xff
	v_cmp_ne_u32_e32 vcc, s0, v1
	v_mov_b32_e32 v4, 0xff
	s_and_saveexec_b64 s[28:29], vcc
; %bb.699:
	s_mov_b32 s0, 0x3fffff
	v_and_b32_e32 v5, 0x400000, v0
	v_and_or_b32 v1, v0, s0, v1
	v_cmp_ne_u32_e32 vcc, 0, v5
	v_cmp_ne_u32_e64 s[0:1], 0, v1
	s_and_b64 s[0:1], vcc, s[0:1]
	v_lshrrev_b32_e32 v4, 23, v0
	v_cndmask_b32_e64 v1, 0, 1, s[0:1]
	v_add_u32_e32 v4, v4, v1
; %bb.700:
	s_or_b64 exec, exec, s[28:29]
	s_mov_b64 s[28:29], -1
	s_mov_b64 s[0:1], 0
	global_store_byte v[2:3], v4, off
.LBB20_701:
	s_mov_b64 s[30:31], 0
.LBB20_702:
	s_and_b64 vcc, exec, s[30:31]
	s_cbranch_vccz .LBB20_705
; %bb.703:
	v_mov_b32_e32 v1, 29
	v_cmp_eq_u16_sdwa s[30:31], v10, v1 src0_sel:BYTE_0 src1_sel:DWORD
	s_mov_b64 s[0:1], -1
	s_and_b64 vcc, exec, s[30:31]
	s_cbranch_vccz .LBB20_705
; %bb.704:
	v_trunc_f32_e32 v1, v0
	v_mul_f32_e32 v4, 0x2f800000, v1
	v_floor_f32_e32 v4, v4
	v_fmac_f32_e32 v1, 0xcf800000, v4
	v_cvt_u32_f32_e32 v5, v4
	v_cvt_u32_f32_e32 v4, v1
	s_mov_b64 s[28:29], -1
	s_mov_b64 s[0:1], 0
	s_mov_b64 s[30:31], 0
	global_store_dwordx2 v[2:3], v[4:5], off
	s_branch .LBB20_706
.LBB20_705:
	s_mov_b64 s[30:31], 0
.LBB20_706:
	s_and_b64 vcc, exec, s[30:31]
	s_cbranch_vccz .LBB20_722
; %bb.707:
	v_mov_b32_e32 v1, 27
	v_cmp_lt_i16_sdwa s[30:31], v10, v1 src0_sel:BYTE_0 src1_sel:DWORD
	s_mov_b64 s[28:29], -1
	s_and_b64 vcc, exec, s[30:31]
	s_cbranch_vccnz .LBB20_713
; %bb.708:
	v_cmp_gt_i16_sdwa s[30:31], v10, v1 src0_sel:BYTE_0 src1_sel:DWORD
	v_cvt_u32_f32_e32 v1, v0
	s_and_b64 vcc, exec, s[30:31]
	s_cbranch_vccz .LBB20_710
; %bb.709:
	s_mov_b64 s[28:29], 0
	global_store_dword v[2:3], v1, off
.LBB20_710:
	s_andn2_b64 vcc, exec, s[28:29]
	s_cbranch_vccnz .LBB20_712
; %bb.711:
	global_store_short v[2:3], v1, off
.LBB20_712:
	s_mov_b64 s[28:29], 0
.LBB20_713:
	s_andn2_b64 vcc, exec, s[28:29]
	s_cbranch_vccnz .LBB20_721
; %bb.714:
	v_and_b32_e32 v1, 0x7fffffff, v0
	s_mov_b32 s28, 0x43800000
	v_cmp_gt_u32_e32 vcc, s28, v1
	v_mov_b32_e32 v4, 0x80
	s_and_saveexec_b64 s[28:29], vcc
	s_cbranch_execz .LBB20_720
; %bb.715:
	s_mov_b32 s30, 0x3bffffff
	v_cmp_lt_u32_e32 vcc, s30, v1
	s_mov_b64 s[30:31], 0
                                        ; implicit-def: $vgpr1
	s_and_saveexec_b64 s[34:35], vcc
	s_xor_b64 s[34:35], exec, s[34:35]
	s_cbranch_execz .LBB20_821
; %bb.716:
	v_bfe_u32 v1, v0, 20, 1
	s_mov_b32 s36, 0x487ffff
	v_add3_u32 v1, v0, v1, s36
	s_mov_b64 s[30:31], exec
	v_lshrrev_b32_e32 v1, 20, v1
	s_or_saveexec_b64 s[34:35], s[34:35]
                                        ; implicit-def: $sgpr36
	s_xor_b64 exec, exec, s[34:35]
	s_cbranch_execnz .LBB20_822
.LBB20_717:
	s_or_b64 exec, exec, s[34:35]
	v_mov_b32_e32 v4, s36
	s_and_saveexec_b64 s[34:35], s[30:31]
.LBB20_718:
	v_lshrrev_b32_e32 v4, 24, v0
	s_movk_i32 s30, 0x80
	v_and_or_b32 v4, v4, s30, v1
.LBB20_719:
	s_or_b64 exec, exec, s[34:35]
.LBB20_720:
	s_or_b64 exec, exec, s[28:29]
	global_store_byte v[2:3], v4, off
.LBB20_721:
	s_mov_b64 s[28:29], -1
.LBB20_722:
	s_mov_b64 s[30:31], 0
.LBB20_723:
	s_and_b64 vcc, exec, s[30:31]
	s_cbranch_vccz .LBB20_764
; %bb.724:
	v_mov_b32_e32 v1, 22
	v_cmp_gt_i16_sdwa s[34:35], v10, v1 src0_sel:BYTE_0 src1_sel:DWORD
	s_mov_b64 s[30:31], -1
	s_and_b64 vcc, exec, s[34:35]
	s_cbranch_vccz .LBB20_756
; %bb.725:
	v_mov_b32_e32 v1, 24
	v_cmp_lt_i16_sdwa s[30:31], v10, v1 src0_sel:BYTE_0 src1_sel:DWORD
	s_mov_b64 s[28:29], -1
	s_and_b64 vcc, exec, s[30:31]
	s_cbranch_vccnz .LBB20_745
; %bb.726:
	v_cmp_gt_i16_sdwa s[30:31], v10, v1 src0_sel:BYTE_0 src1_sel:DWORD
	s_and_b64 vcc, exec, s[30:31]
	s_cbranch_vccz .LBB20_734
; %bb.727:
	v_and_b32_e32 v1, 0x7fffffff, v0
	s_mov_b32 s28, 0x47800000
	v_cmp_gt_u32_e32 vcc, s28, v1
	v_mov_b32_e32 v4, 0x80
	s_and_saveexec_b64 s[28:29], vcc
	s_cbranch_execz .LBB20_733
; %bb.728:
	s_mov_b32 s30, 0x37ffffff
	v_cmp_lt_u32_e32 vcc, s30, v1
	s_mov_b64 s[30:31], 0
                                        ; implicit-def: $vgpr1
	s_and_saveexec_b64 s[34:35], vcc
	s_xor_b64 s[34:35], exec, s[34:35]
	s_cbranch_execz .LBB20_824
; %bb.729:
	v_bfe_u32 v1, v0, 21, 1
	s_mov_b32 s36, 0x88fffff
	v_add3_u32 v1, v0, v1, s36
	s_mov_b64 s[30:31], exec
	v_lshrrev_b32_e32 v1, 21, v1
	s_or_saveexec_b64 s[34:35], s[34:35]
                                        ; implicit-def: $sgpr36
	s_xor_b64 exec, exec, s[34:35]
	s_cbranch_execnz .LBB20_825
.LBB20_730:
	s_or_b64 exec, exec, s[34:35]
	v_mov_b32_e32 v4, s36
	s_and_saveexec_b64 s[34:35], s[30:31]
.LBB20_731:
	v_lshrrev_b32_e32 v4, 24, v0
	s_movk_i32 s30, 0x80
	v_and_or_b32 v4, v4, s30, v1
.LBB20_732:
	s_or_b64 exec, exec, s[34:35]
.LBB20_733:
	s_or_b64 exec, exec, s[28:29]
	s_mov_b64 s[28:29], 0
	global_store_byte v[2:3], v4, off
.LBB20_734:
	s_and_b64 vcc, exec, s[28:29]
	s_cbranch_vccz .LBB20_744
; %bb.735:
	v_and_b32_e32 v4, 0x7fffffff, v0
	s_mov_b32 s28, 0x43f00000
	v_cmp_gt_u32_e32 vcc, s28, v4
                                        ; implicit-def: $vgpr1
	s_and_saveexec_b64 s[28:29], vcc
	s_xor_b64 s[28:29], exec, s[28:29]
	s_cbranch_execz .LBB20_741
; %bb.736:
	s_mov_b32 s30, 0x3c7fffff
	v_cmp_lt_u32_e32 vcc, s30, v4
                                        ; implicit-def: $vgpr1
	s_and_saveexec_b64 s[30:31], vcc
	s_xor_b64 s[30:31], exec, s[30:31]
; %bb.737:
	v_bfe_u32 v1, v0, 20, 1
	s_mov_b32 s34, 0x407ffff
	v_add3_u32 v1, v0, v1, s34
	v_lshrrev_b32_e32 v4, 20, v1
	v_and_b32_e32 v1, 0xff00000, v1
	s_mov_b32 s34, 0x7f00000
	v_mov_b32_e32 v5, 0x7e
	v_cmp_ne_u32_e32 vcc, s34, v1
	v_cndmask_b32_e32 v1, v5, v4, vcc
; %bb.738:
	s_andn2_saveexec_b64 s[30:31], s[30:31]
; %bb.739:
	s_mov_b32 s34, 0x46800000
	v_add_f32_e64 v1, |v0|, s34
; %bb.740:
	s_or_b64 exec, exec, s[30:31]
                                        ; implicit-def: $vgpr4
.LBB20_741:
	s_andn2_saveexec_b64 s[28:29], s[28:29]
; %bb.742:
	s_mov_b32 s30, 0x7f800000
	v_mov_b32_e32 v1, 0x7e
	v_mov_b32_e32 v5, 0x7f
	v_cmp_lt_u32_e32 vcc, s30, v4
	v_cndmask_b32_e32 v1, v1, v5, vcc
; %bb.743:
	s_or_b64 exec, exec, s[28:29]
	v_lshrrev_b32_e32 v4, 24, v0
	s_movk_i32 s28, 0x80
	v_and_or_b32 v1, v4, s28, v1
	global_store_byte v[2:3], v1, off
.LBB20_744:
	s_mov_b64 s[28:29], 0
.LBB20_745:
	s_andn2_b64 vcc, exec, s[28:29]
	s_cbranch_vccnz .LBB20_755
; %bb.746:
	v_and_b32_e32 v4, 0x7fffffff, v0
	s_mov_b32 s28, 0x47800000
	v_cmp_gt_u32_e32 vcc, s28, v4
                                        ; implicit-def: $vgpr1
	s_and_saveexec_b64 s[28:29], vcc
	s_xor_b64 s[28:29], exec, s[28:29]
	s_cbranch_execz .LBB20_752
; %bb.747:
	s_mov_b32 s30, 0x387fffff
	v_cmp_lt_u32_e32 vcc, s30, v4
                                        ; implicit-def: $vgpr1
	s_and_saveexec_b64 s[30:31], vcc
	s_xor_b64 s[30:31], exec, s[30:31]
; %bb.748:
	v_bfe_u32 v1, v0, 21, 1
	s_mov_b32 s34, 0x80fffff
	v_add3_u32 v1, v0, v1, s34
	v_lshrrev_b32_e32 v1, 21, v1
; %bb.749:
	s_andn2_saveexec_b64 s[30:31], s[30:31]
; %bb.750:
	s_mov_b32 s34, 0x43000000
	v_add_f32_e64 v1, |v0|, s34
; %bb.751:
	s_or_b64 exec, exec, s[30:31]
                                        ; implicit-def: $vgpr4
.LBB20_752:
	s_andn2_saveexec_b64 s[28:29], s[28:29]
; %bb.753:
	s_mov_b32 s30, 0x7f800000
	v_mov_b32_e32 v1, 0x7c
	v_mov_b32_e32 v5, 0x7f
	v_cmp_lt_u32_e32 vcc, s30, v4
	v_cndmask_b32_e32 v1, v1, v5, vcc
; %bb.754:
	s_or_b64 exec, exec, s[28:29]
	v_lshrrev_b32_e32 v4, 24, v0
	s_movk_i32 s28, 0x80
	v_and_or_b32 v1, v4, s28, v1
	global_store_byte v[2:3], v1, off
.LBB20_755:
	s_mov_b64 s[30:31], 0
	s_mov_b64 s[28:29], -1
.LBB20_756:
	s_andn2_b64 vcc, exec, s[30:31]
	s_cbranch_vccnz .LBB20_764
; %bb.757:
	v_mov_b32_e32 v1, 14
	v_cmp_gt_i16_sdwa s[34:35], v10, v1 src0_sel:BYTE_0 src1_sel:DWORD
	s_mov_b64 s[30:31], -1
	s_and_b64 vcc, exec, s[34:35]
	s_cbranch_vccz .LBB20_761
; %bb.758:
	v_mov_b32_e32 v1, 15
	v_cmp_eq_u16_sdwa s[30:31], v10, v1 src0_sel:BYTE_0 src1_sel:DWORD
	s_mov_b64 s[0:1], -1
	s_and_b64 vcc, exec, s[30:31]
	s_cbranch_vccz .LBB20_760
; %bb.759:
	v_bfe_u32 v1, v0, 16, 1
	s_movk_i32 s0, 0x7fff
	v_add3_u32 v1, v0, v1, s0
	v_lshrrev_b32_e32 v1, 16, v1
	v_mov_b32_e32 v4, 0x7fc0
	v_cmp_o_f32_e32 vcc, v0, v0
	v_cndmask_b32_e32 v1, v4, v1, vcc
	global_store_short v[2:3], v1, off
	s_mov_b64 s[28:29], -1
	s_mov_b64 s[0:1], 0
.LBB20_760:
	s_mov_b64 s[30:31], 0
.LBB20_761:
	s_and_b64 vcc, exec, s[30:31]
	s_cbranch_vccz .LBB20_764
; %bb.762:
	v_mov_b32_e32 v1, 11
	v_cmp_eq_u16_sdwa s[30:31], v10, v1 src0_sel:BYTE_0 src1_sel:DWORD
	s_mov_b64 s[0:1], -1
	s_and_b64 vcc, exec, s[30:31]
	s_cbranch_vccz .LBB20_764
; %bb.763:
	v_cmp_neq_f32_e32 vcc, 0, v0
	v_cndmask_b32_e64 v1, 0, 1, vcc
	s_mov_b64 s[28:29], -1
	s_mov_b64 s[0:1], 0
	global_store_byte v[2:3], v1, off
.LBB20_764:
	s_mov_b64 s[30:31], 0
.LBB20_765:
	s_and_b64 vcc, exec, s[30:31]
	s_cbranch_vccz .LBB20_804
; %bb.766:
	v_mov_b32_e32 v1, 5
	v_cmp_lt_i16_sdwa s[30:31], v10, v1 src0_sel:BYTE_0 src1_sel:DWORD
	s_mov_b64 s[28:29], -1
	s_and_b64 vcc, exec, s[30:31]
	s_cbranch_vccnz .LBB20_787
; %bb.767:
	v_mov_b32_e32 v1, 8
	v_cmp_lt_i16_sdwa s[30:31], v10, v1 src0_sel:BYTE_0 src1_sel:DWORD
	s_and_b64 vcc, exec, s[30:31]
	s_cbranch_vccnz .LBB20_777
; %bb.768:
	v_mov_b32_e32 v1, 9
	v_cmp_lt_i16_sdwa s[30:31], v10, v1 src0_sel:BYTE_0 src1_sel:DWORD
	s_and_b64 vcc, exec, s[30:31]
	s_cbranch_vccnz .LBB20_774
; %bb.769:
	v_cmp_gt_i16_sdwa s[30:31], v10, v1 src0_sel:BYTE_0 src1_sel:DWORD
	s_and_b64 vcc, exec, s[30:31]
	s_cbranch_vccz .LBB20_771
; %bb.770:
	v_mov_b32_e32 v6, 0
	v_cvt_f64_f32_e32 v[4:5], v0
	v_mov_b32_e32 v7, v6
	s_mov_b64 s[28:29], 0
	global_store_dwordx4 v[2:3], v[4:7], off
.LBB20_771:
	s_andn2_b64 vcc, exec, s[28:29]
	s_cbranch_vccnz .LBB20_773
; %bb.772:
	v_mov_b32_e32 v1, 0
	global_store_dwordx2 v[2:3], v[0:1], off
.LBB20_773:
	s_mov_b64 s[28:29], 0
.LBB20_774:
	s_andn2_b64 vcc, exec, s[28:29]
	s_cbranch_vccnz .LBB20_776
; %bb.775:
	v_cvt_f16_f32_e32 v1, v0
	global_store_dword v[2:3], v1, off
.LBB20_776:
	s_mov_b64 s[28:29], 0
.LBB20_777:
	s_andn2_b64 vcc, exec, s[28:29]
	s_cbranch_vccnz .LBB20_786
; %bb.778:
	v_mov_b32_e32 v1, 6
	v_cmp_lt_i16_sdwa s[30:31], v10, v1 src0_sel:BYTE_0 src1_sel:DWORD
	s_mov_b64 s[28:29], -1
	s_and_b64 vcc, exec, s[30:31]
	s_cbranch_vccnz .LBB20_784
; %bb.779:
	v_cmp_gt_i16_sdwa s[30:31], v10, v1 src0_sel:BYTE_0 src1_sel:DWORD
	s_and_b64 vcc, exec, s[30:31]
	s_cbranch_vccz .LBB20_781
; %bb.780:
	v_cvt_f64_f32_e32 v[4:5], v0
	s_mov_b64 s[28:29], 0
	global_store_dwordx2 v[2:3], v[4:5], off
.LBB20_781:
	s_andn2_b64 vcc, exec, s[28:29]
	s_cbranch_vccnz .LBB20_783
; %bb.782:
	global_store_dword v[2:3], v0, off
.LBB20_783:
	s_mov_b64 s[28:29], 0
.LBB20_784:
	s_andn2_b64 vcc, exec, s[28:29]
	s_cbranch_vccnz .LBB20_786
; %bb.785:
	v_cvt_f16_f32_e32 v1, v0
	global_store_short v[2:3], v1, off
.LBB20_786:
	s_mov_b64 s[28:29], 0
.LBB20_787:
	s_andn2_b64 vcc, exec, s[28:29]
	s_cbranch_vccnz .LBB20_803
; %bb.788:
	v_mov_b32_e32 v1, 2
	v_cmp_lt_i16_sdwa s[30:31], v10, v1 src0_sel:BYTE_0 src1_sel:DWORD
	s_mov_b64 s[28:29], -1
	s_and_b64 vcc, exec, s[30:31]
	s_cbranch_vccnz .LBB20_798
; %bb.789:
	v_mov_b32_e32 v1, 3
	v_cmp_lt_i16_sdwa s[30:31], v10, v1 src0_sel:BYTE_0 src1_sel:DWORD
	s_and_b64 vcc, exec, s[30:31]
	s_cbranch_vccnz .LBB20_795
; %bb.790:
	v_cmp_gt_i16_sdwa s[30:31], v10, v1 src0_sel:BYTE_0 src1_sel:DWORD
	s_and_b64 vcc, exec, s[30:31]
	s_cbranch_vccz .LBB20_792
; %bb.791:
	v_trunc_f32_e32 v1, v0
	s_mov_b32 s28, 0x2f800000
	v_mul_f32_e64 v4, |v1|, s28
	v_floor_f32_e32 v4, v4
	s_mov_b32 s28, 0xcf800000
	v_cvt_u32_f32_e32 v5, v4
	v_fma_f32 v4, v4, s28, |v1|
	v_cvt_u32_f32_e32 v4, v4
	v_ashrrev_i32_e32 v1, 31, v1
	v_xor_b32_e32 v5, v5, v1
	s_mov_b64 s[28:29], 0
	v_xor_b32_e32 v4, v4, v1
	v_sub_co_u32_e32 v4, vcc, v4, v1
	v_subb_co_u32_e32 v5, vcc, v5, v1, vcc
	global_store_dwordx2 v[2:3], v[4:5], off
.LBB20_792:
	s_andn2_b64 vcc, exec, s[28:29]
	s_cbranch_vccnz .LBB20_794
; %bb.793:
	v_cvt_i32_f32_e32 v1, v0
	global_store_dword v[2:3], v1, off
.LBB20_794:
	s_mov_b64 s[28:29], 0
.LBB20_795:
	s_andn2_b64 vcc, exec, s[28:29]
	s_cbranch_vccnz .LBB20_797
; %bb.796:
	v_cvt_i32_f32_e32 v1, v0
	global_store_short v[2:3], v1, off
.LBB20_797:
	s_mov_b64 s[28:29], 0
.LBB20_798:
	s_andn2_b64 vcc, exec, s[28:29]
	s_cbranch_vccnz .LBB20_803
; %bb.799:
	v_mov_b32_e32 v1, 0
	v_cmp_gt_i16_sdwa s[30:31], v10, v1 src0_sel:BYTE_0 src1_sel:DWORD
	s_mov_b64 s[28:29], -1
	s_and_b64 vcc, exec, s[30:31]
	s_cbranch_vccz .LBB20_801
; %bb.800:
	v_cvt_i32_f32_e32 v1, v0
	s_mov_b64 s[28:29], 0
	global_store_byte v[2:3], v1, off
.LBB20_801:
	s_andn2_b64 vcc, exec, s[28:29]
	s_cbranch_vccnz .LBB20_803
; %bb.802:
	v_trunc_f32_e32 v0, v0
	s_mov_b32 s28, 0x2f800000
	v_mul_f32_e64 v1, |v0|, s28
	v_floor_f32_e32 v1, v1
	s_mov_b32 s28, 0xcf800000
	v_fma_f32 v1, v1, s28, |v0|
	v_cvt_u32_f32_e32 v1, v1
	v_ashrrev_i32_e32 v0, 31, v0
	v_xor_b32_e32 v1, v1, v0
	v_sub_u32_e32 v0, v1, v0
	global_store_byte v[2:3], v0, off
.LBB20_803:
	s_mov_b64 s[28:29], -1
.LBB20_804:
	s_andn2_b64 vcc, exec, s[28:29]
	s_cbranch_vccnz .LBB20_806
; %bb.805:
	v_add_u32_e32 v8, 0x80, v8
	s_mov_b64 s[30:31], -1
	s_branch .LBB20_807
.LBB20_806:
	s_mov_b64 s[30:31], 0
                                        ; implicit-def: $vgpr8
.LBB20_807:
	s_andn2_b64 s[28:29], s[20:21], exec
	s_and_b64 s[0:1], s[0:1], exec
	s_or_b64 s[28:29], s[28:29], s[0:1]
	s_andn2_b64 s[0:1], s[18:19], exec
	s_and_b64 s[26:27], s[26:27], exec
	s_or_b64 s[0:1], s[0:1], s[26:27]
	s_orn2_b64 s[34:35], s[30:31], exec
.LBB20_808:
	s_or_b64 exec, exec, s[24:25]
	s_mov_b64 s[30:31], 0
	s_mov_b64 s[26:27], 0
	;; [unrolled: 1-line block ×3, first 2 shown]
                                        ; implicit-def: $vgpr0_vgpr1
                                        ; implicit-def: $vgpr4
	s_and_saveexec_b64 s[24:25], s[34:35]
	s_cbranch_execz .LBB20_893
; %bb.809:
	v_cmp_gt_i32_e32 vcc, s33, v8
	s_mov_b64 s[34:35], 0
	s_mov_b64 s[38:39], s[0:1]
	;; [unrolled: 1-line block ×3, first 2 shown]
                                        ; implicit-def: $vgpr0_vgpr1
                                        ; implicit-def: $vgpr4
	s_and_saveexec_b64 s[26:27], vcc
	s_cbranch_execz .LBB20_892
; %bb.810:
	v_mul_lo_u32 v0, v8, s13
	v_ashrrev_i32_e32 v1, 31, v0
	s_waitcnt vmcnt(0)
	v_mov_b32_e32 v2, s11
	v_add_co_u32_e32 v0, vcc, s10, v0
	v_addc_co_u32_e32 v1, vcc, v2, v1, vcc
	v_cmp_gt_i16_e32 vcc, 11, v9
	s_cbranch_vccnz .LBB20_817
; %bb.811:
	v_cmp_lt_i16_e32 vcc, 25, v9
	s_cbranch_vccz .LBB20_818
; %bb.812:
	v_cmp_lt_i16_e32 vcc, 28, v9
	s_cbranch_vccz .LBB20_819
	;; [unrolled: 3-line block ×4, first 2 shown]
; %bb.815:
	v_cmp_eq_u16_e32 vcc, 46, v9
	s_mov_b64 s[38:39], 0
	s_cbranch_vccz .LBB20_826
; %bb.816:
	global_load_dword v2, v[0:1], off
	s_mov_b64 s[36:37], -1
	s_waitcnt vmcnt(0)
	v_lshlrev_b32_e32 v4, 16, v2
	s_branch .LBB20_828
.LBB20_817:
	s_mov_b64 s[38:39], -1
                                        ; implicit-def: $vgpr4
	s_mov_b64 s[30:31], s[0:1]
	s_branch .LBB20_891
.LBB20_818:
	s_mov_b64 s[38:39], -1
	s_mov_b64 s[30:31], s[0:1]
                                        ; implicit-def: $vgpr4
	s_branch .LBB20_857
.LBB20_819:
	s_mov_b64 s[38:39], -1
	s_mov_b64 s[30:31], s[0:1]
                                        ; implicit-def: $vgpr4
	s_branch .LBB20_838
.LBB20_820:
	s_mov_b64 s[38:39], -1
	s_mov_b64 s[30:31], s[0:1]
                                        ; implicit-def: $vgpr4
	s_branch .LBB20_833
.LBB20_821:
	s_or_saveexec_b64 s[34:35], s[34:35]
                                        ; implicit-def: $sgpr36
	s_xor_b64 exec, exec, s[34:35]
	s_cbranch_execz .LBB20_717
.LBB20_822:
	s_mov_b32 s36, 0x46000000
	v_add_f32_e64 v1, |v0|, s36
	v_and_b32_e32 v1, 0xff, v1
	v_cmp_ne_u32_e32 vcc, 0, v1
	s_andn2_b64 s[30:31], s[30:31], exec
	s_and_b64 s[38:39], vcc, exec
	s_mov_b32 s36, 0
	s_or_b64 s[30:31], s[30:31], s[38:39]
	s_or_b64 exec, exec, s[34:35]
	v_mov_b32_e32 v4, s36
	s_and_saveexec_b64 s[34:35], s[30:31]
	s_cbranch_execnz .LBB20_718
	s_branch .LBB20_719
.LBB20_823:
	s_mov_b64 s[38:39], -1
	s_mov_b64 s[30:31], s[0:1]
	s_branch .LBB20_827
.LBB20_824:
	s_or_saveexec_b64 s[34:35], s[34:35]
                                        ; implicit-def: $sgpr36
	s_xor_b64 exec, exec, s[34:35]
	s_cbranch_execz .LBB20_730
.LBB20_825:
	s_mov_b32 s36, 0x42800000
	v_add_f32_e64 v1, |v0|, s36
	v_and_b32_e32 v1, 0xff, v1
	v_cmp_ne_u32_e32 vcc, 0, v1
	s_andn2_b64 s[30:31], s[30:31], exec
	s_and_b64 s[38:39], vcc, exec
	s_mov_b32 s36, 0
	s_or_b64 s[30:31], s[30:31], s[38:39]
	s_or_b64 exec, exec, s[34:35]
	v_mov_b32_e32 v4, s36
	s_and_saveexec_b64 s[34:35], s[30:31]
	s_cbranch_execnz .LBB20_731
	s_branch .LBB20_732
.LBB20_826:
	s_mov_b64 s[30:31], -1
.LBB20_827:
                                        ; implicit-def: $vgpr4
.LBB20_828:
	s_and_b64 vcc, exec, s[38:39]
	s_cbranch_vccz .LBB20_832
; %bb.829:
	v_cmp_eq_u16_e32 vcc, 44, v9
	s_cbranch_vccz .LBB20_831
; %bb.830:
	global_load_ubyte v2, v[0:1], off
	s_movk_i32 s33, 0xff
	v_mov_b32_e32 v3, 0x7f800001
	v_mov_b32_e32 v4, 0x400000
	s_mov_b64 s[30:31], 0
	s_mov_b64 s[36:37], -1
	s_waitcnt vmcnt(0)
	v_lshlrev_b32_e32 v5, 23, v2
	v_cmp_ne_u32_e32 vcc, s33, v2
	v_cndmask_b32_e32 v3, v3, v5, vcc
	v_cmp_ne_u32_e32 vcc, 0, v2
	v_cndmask_b32_e32 v4, v4, v3, vcc
	s_branch .LBB20_832
.LBB20_831:
	s_mov_b64 s[30:31], -1
                                        ; implicit-def: $vgpr4
.LBB20_832:
	s_mov_b64 s[38:39], 0
.LBB20_833:
	s_and_b64 vcc, exec, s[38:39]
	s_cbranch_vccz .LBB20_837
; %bb.834:
	v_cmp_eq_u16_e32 vcc, 29, v9
	s_cbranch_vccz .LBB20_836
; %bb.835:
	global_load_dwordx2 v[2:3], v[0:1], off
	s_mov_b64 s[30:31], 0
	s_mov_b64 s[36:37], -1
	s_mov_b64 s[38:39], 0
	s_waitcnt vmcnt(0)
	v_ffbh_u32_e32 v4, v3
	v_min_u32_e32 v4, 32, v4
	v_lshlrev_b64 v[2:3], v4, v[2:3]
	v_min_u32_e32 v2, 1, v2
	v_or_b32_e32 v2, v3, v2
	v_cvt_f32_u32_e32 v2, v2
	v_sub_u32_e32 v3, 32, v4
	v_ldexp_f32 v4, v2, v3
	s_branch .LBB20_838
.LBB20_836:
	s_mov_b64 s[30:31], -1
                                        ; implicit-def: $vgpr4
.LBB20_837:
	s_mov_b64 s[38:39], 0
.LBB20_838:
	s_and_b64 vcc, exec, s[38:39]
	s_cbranch_vccz .LBB20_856
; %bb.839:
	v_cmp_gt_i16_e32 vcc, 27, v9
	s_cbranch_vccnz .LBB20_842
; %bb.840:
	v_cmp_lt_i16_e32 vcc, 27, v9
	s_cbranch_vccz .LBB20_843
; %bb.841:
	global_load_dword v2, v[0:1], off
	s_mov_b64 s[36:37], 0
	s_waitcnt vmcnt(0)
	v_cvt_f32_u32_e32 v4, v2
	s_branch .LBB20_844
.LBB20_842:
	s_mov_b64 s[36:37], -1
                                        ; implicit-def: $vgpr4
	s_branch .LBB20_847
.LBB20_843:
	s_mov_b64 s[36:37], -1
                                        ; implicit-def: $vgpr4
.LBB20_844:
	s_andn2_b64 vcc, exec, s[36:37]
	s_cbranch_vccnz .LBB20_846
; %bb.845:
	global_load_ushort v2, v[0:1], off
	s_waitcnt vmcnt(0)
	v_cvt_f32_u32_e32 v4, v2
.LBB20_846:
	s_mov_b64 s[36:37], 0
.LBB20_847:
	s_andn2_b64 vcc, exec, s[36:37]
	s_cbranch_vccnz .LBB20_855
; %bb.848:
	global_load_ubyte v2, v[0:1], off
	s_movk_i32 s33, 0x7f
	s_mov_b64 s[36:37], 0
	s_waitcnt vmcnt(0)
	v_cmp_lt_i16_e32 vcc, s33, v2
                                        ; implicit-def: $sgpr33
	s_and_saveexec_b64 s[38:39], vcc
	s_xor_b64 s[38:39], exec, s[38:39]
	s_cbranch_execz .LBB20_869
; %bb.849:
	s_movk_i32 s33, 0x80
	v_cmp_eq_u16_e32 vcc, s33, v2
	s_mov_b64 s[36:37], -1
                                        ; implicit-def: $sgpr33
	s_and_saveexec_b64 s[40:41], vcc
; %bb.850:
	s_mov_b32 s33, 0x7f800001
	s_xor_b64 s[36:37], exec, -1
; %bb.851:
	s_or_b64 exec, exec, s[40:41]
	s_and_b64 s[36:37], s[36:37], exec
	s_or_saveexec_b64 s[38:39], s[38:39]
	v_mov_b32_e32 v4, s33
	s_xor_b64 exec, exec, s[38:39]
	s_cbranch_execnz .LBB20_870
.LBB20_852:
	s_or_b64 exec, exec, s[38:39]
	s_and_saveexec_b64 s[38:39], s[36:37]
	s_cbranch_execz .LBB20_854
.LBB20_853:
	v_lshlrev_b32_e32 v3, 24, v2
	v_and_b32_e32 v2, 0xffff, v2
	v_and_b32_e32 v4, 7, v2
	v_ffbh_u32_e32 v6, v4
	v_min_u32_e32 v6, 32, v6
	v_subrev_u32_e32 v7, 28, v6
	v_bfe_u32 v5, v2, 3, 4
	v_lshlrev_b32_e32 v2, v7, v2
	v_sub_u32_e32 v6, 29, v6
	v_and_b32_e32 v2, 7, v2
	v_cmp_eq_u32_e32 vcc, 0, v5
	v_cndmask_b32_e32 v5, v5, v6, vcc
	v_cndmask_b32_e32 v2, v4, v2, vcc
	v_mov_b32_e32 v4, 0x3b800000
	v_lshlrev_b32_e32 v2, 20, v2
	v_and_b32_e32 v3, 0x80000000, v3
	v_lshl_add_u32 v4, v5, 23, v4
	v_or3_b32 v4, v3, v4, v2
.LBB20_854:
	s_or_b64 exec, exec, s[38:39]
.LBB20_855:
	s_mov_b64 s[36:37], -1
.LBB20_856:
	s_mov_b64 s[38:39], 0
.LBB20_857:
	s_and_b64 vcc, exec, s[38:39]
	s_cbranch_vccz .LBB20_890
; %bb.858:
	v_cmp_lt_i16_e32 vcc, 22, v9
	s_cbranch_vccz .LBB20_868
; %bb.859:
	v_cmp_gt_i16_e32 vcc, 24, v9
	s_cbranch_vccnz .LBB20_871
; %bb.860:
	v_cmp_lt_i16_e32 vcc, 24, v9
	s_cbranch_vccz .LBB20_872
; %bb.861:
	global_load_ubyte v2, v[0:1], off
	s_movk_i32 s33, 0x7f
	s_waitcnt vmcnt(0)
	v_cmp_lt_i16_e32 vcc, s33, v2
                                        ; implicit-def: $sgpr33
	s_and_saveexec_b64 s[36:37], vcc
	s_xor_b64 s[36:37], exec, s[36:37]
	s_cbranch_execz .LBB20_884
; %bb.862:
	s_movk_i32 s33, 0x80
	v_cmp_eq_u16_e32 vcc, s33, v2
	s_mov_b64 s[34:35], -1
                                        ; implicit-def: $sgpr33
	s_and_saveexec_b64 s[38:39], vcc
; %bb.863:
	s_mov_b32 s33, 0x7f800001
	s_xor_b64 s[34:35], exec, -1
; %bb.864:
	s_or_b64 exec, exec, s[38:39]
	s_and_b64 s[34:35], s[34:35], exec
	s_or_saveexec_b64 s[36:37], s[36:37]
	v_mov_b32_e32 v4, s33
	s_xor_b64 exec, exec, s[36:37]
	s_cbranch_execnz .LBB20_885
.LBB20_865:
	s_or_b64 exec, exec, s[36:37]
	s_and_saveexec_b64 s[36:37], s[34:35]
	s_cbranch_execz .LBB20_867
.LBB20_866:
	v_lshlrev_b32_e32 v3, 24, v2
	v_and_b32_e32 v2, 0xffff, v2
	v_and_b32_e32 v4, 3, v2
	v_ffbh_u32_e32 v6, v4
	v_min_u32_e32 v6, 32, v6
	v_subrev_u32_e32 v7, 29, v6
	v_bfe_u32 v5, v2, 2, 5
	v_lshlrev_b32_e32 v2, v7, v2
	v_sub_u32_e32 v6, 30, v6
	v_and_b32_e32 v2, 3, v2
	v_cmp_eq_u32_e32 vcc, 0, v5
	v_cndmask_b32_e32 v5, v5, v6, vcc
	v_cndmask_b32_e32 v2, v4, v2, vcc
	v_mov_b32_e32 v4, 0x37800000
	v_lshlrev_b32_e32 v2, 21, v2
	v_and_b32_e32 v3, 0x80000000, v3
	v_lshl_add_u32 v4, v5, 23, v4
	v_or3_b32 v4, v3, v4, v2
.LBB20_867:
	s_or_b64 exec, exec, s[36:37]
	s_mov_b64 s[34:35], 0
	s_branch .LBB20_873
.LBB20_868:
	s_mov_b64 s[34:35], -1
                                        ; implicit-def: $vgpr4
	s_branch .LBB20_879
.LBB20_869:
	s_or_saveexec_b64 s[38:39], s[38:39]
	v_mov_b32_e32 v4, s33
	s_xor_b64 exec, exec, s[38:39]
	s_cbranch_execz .LBB20_852
.LBB20_870:
	v_cmp_ne_u16_e32 vcc, 0, v2
	s_andn2_b64 s[36:37], s[36:37], exec
	s_and_b64 s[40:41], vcc, exec
	v_mov_b32_e32 v4, 0
	s_or_b64 s[36:37], s[36:37], s[40:41]
	s_or_b64 exec, exec, s[38:39]
	s_and_saveexec_b64 s[38:39], s[36:37]
	s_cbranch_execnz .LBB20_853
	s_branch .LBB20_854
.LBB20_871:
	s_mov_b64 s[34:35], -1
                                        ; implicit-def: $vgpr4
	s_branch .LBB20_876
.LBB20_872:
	s_mov_b64 s[34:35], -1
                                        ; implicit-def: $vgpr4
.LBB20_873:
	s_and_b64 vcc, exec, s[34:35]
	s_cbranch_vccz .LBB20_875
; %bb.874:
	global_load_ubyte v2, v[0:1], off
	s_mov_b32 s33, 0x7f800000
	s_waitcnt vmcnt(0)
	v_lshlrev_b32_e32 v2, 24, v2
	v_and_b32_e32 v3, 0x7f000000, v2
	v_ffbh_u32_e32 v4, v3
	v_min_u32_e32 v4, 32, v4
	v_sub_u32_e64 v4, v4, 4 clamp
	v_lshlrev_b32_e32 v6, v4, v3
	v_lshlrev_b32_e32 v4, 23, v4
	v_lshrrev_b32_e32 v6, 4, v6
	v_add_u32_e32 v5, 0x1000000, v3
	v_sub_u32_e32 v4, v6, v4
	v_ashrrev_i32_e32 v5, 8, v5
	v_add_u32_e32 v4, 0x3c000000, v4
	v_and_or_b32 v4, v5, s33, v4
	v_cmp_ne_u32_e32 vcc, 0, v3
	v_cndmask_b32_e32 v3, 0, v4, vcc
	s_brev_b32 s33, 1
	v_and_or_b32 v4, v2, s33, v3
.LBB20_875:
	s_mov_b64 s[34:35], 0
.LBB20_876:
	s_andn2_b64 vcc, exec, s[34:35]
	s_cbranch_vccnz .LBB20_878
; %bb.877:
	global_load_ubyte v2, v[0:1], off
	s_movk_i32 s33, 0x7f00
	s_brev_b32 s34, 16
	s_waitcnt vmcnt(0)
	v_lshlrev_b16_e32 v3, 8, v2
	v_lshlrev_b32_e32 v2, 25, v2
	v_lshrrev_b32_e32 v4, 4, v2
	v_and_or_b32 v5, v3, s33, 0.5
	v_or_b32_e32 v4, 0x70000000, v4
	v_add_f32_e32 v5, -0.5, v5
	v_mul_f32_e32 v4, 0x7800000, v4
	v_cmp_gt_u32_e32 vcc, s34, v2
	v_bfe_i32 v3, v3, 0, 16
	v_cndmask_b32_e32 v2, v4, v5, vcc
	s_brev_b32 s33, 1
	v_and_or_b32 v4, v3, s33, v2
.LBB20_878:
	s_mov_b64 s[34:35], 0
	s_mov_b64 s[36:37], -1
.LBB20_879:
	s_andn2_b64 vcc, exec, s[34:35]
	s_mov_b64 s[34:35], 0
	s_cbranch_vccnz .LBB20_890
; %bb.880:
	v_cmp_lt_i16_e32 vcc, 14, v9
	s_cbranch_vccz .LBB20_883
; %bb.881:
	v_cmp_eq_u16_e32 vcc, 15, v9
	s_cbranch_vccz .LBB20_886
; %bb.882:
	global_load_ushort v2, v[0:1], off
	s_mov_b64 s[30:31], 0
	s_mov_b64 s[36:37], -1
	s_waitcnt vmcnt(0)
	v_lshlrev_b32_e32 v4, 16, v2
	s_branch .LBB20_887
.LBB20_883:
	s_mov_b64 s[38:39], -1
                                        ; implicit-def: $vgpr4
	s_branch .LBB20_888
.LBB20_884:
	s_or_saveexec_b64 s[36:37], s[36:37]
	v_mov_b32_e32 v4, s33
	s_xor_b64 exec, exec, s[36:37]
	s_cbranch_execz .LBB20_865
.LBB20_885:
	v_cmp_ne_u16_e32 vcc, 0, v2
	s_andn2_b64 s[34:35], s[34:35], exec
	s_and_b64 s[38:39], vcc, exec
	v_mov_b32_e32 v4, 0
	s_or_b64 s[34:35], s[34:35], s[38:39]
	s_or_b64 exec, exec, s[36:37]
	s_and_saveexec_b64 s[36:37], s[34:35]
	s_cbranch_execnz .LBB20_866
	s_branch .LBB20_867
.LBB20_886:
	s_mov_b64 s[30:31], -1
                                        ; implicit-def: $vgpr4
.LBB20_887:
	s_mov_b64 s[38:39], 0
.LBB20_888:
	s_and_b64 vcc, exec, s[38:39]
	s_cbranch_vccz .LBB20_890
; %bb.889:
	v_cmp_ne_u16_e32 vcc, 11, v9
	s_andn2_b64 s[30:31], s[30:31], exec
	s_and_b64 s[38:39], vcc, exec
	s_mov_b64 s[34:35], -1
	s_or_b64 s[30:31], s[30:31], s[38:39]
                                        ; implicit-def: $vgpr4
.LBB20_890:
	s_mov_b64 s[38:39], 0
.LBB20_891:
	s_and_b64 s[40:41], s[38:39], exec
	s_andn2_b64 s[38:39], s[0:1], exec
	s_and_b64 s[30:31], s[30:31], exec
	s_and_b64 s[36:37], s[36:37], exec
	;; [unrolled: 1-line block ×3, first 2 shown]
	s_or_b64 s[38:39], s[38:39], s[30:31]
.LBB20_892:
	s_or_b64 exec, exec, s[26:27]
	s_and_b64 s[30:31], s[34:35], exec
	s_andn2_b64 s[0:1], s[0:1], exec
	s_and_b64 s[34:35], s[38:39], exec
	s_and_b64 s[36:37], s[36:37], exec
	;; [unrolled: 1-line block ×3, first 2 shown]
	s_or_b64 s[0:1], s[0:1], s[34:35]
.LBB20_893:
	s_or_b64 exec, exec, s[24:25]
	s_andn2_b64 s[20:21], s[20:21], exec
	s_and_b64 s[24:25], s[28:29], exec
	s_andn2_b64 s[18:19], s[18:19], exec
	s_and_b64 s[0:1], s[0:1], exec
	s_or_b64 s[20:21], s[20:21], s[24:25]
	s_and_b64 s[28:29], s[36:37], exec
	s_and_b64 s[26:27], s[26:27], exec
	;; [unrolled: 1-line block ×3, first 2 shown]
	s_or_b64 s[18:19], s[18:19], s[0:1]
.LBB20_894:
	s_or_b64 exec, exec, s[22:23]
	s_andn2_b64 s[0:1], s[6:7], exec
	s_and_b64 s[6:7], s[20:21], exec
	s_andn2_b64 s[14:15], s[14:15], exec
	s_and_b64 s[18:19], s[18:19], exec
	s_or_b64 s[6:7], s[0:1], s[6:7]
	s_and_b64 s[0:1], s[28:29], exec
	s_and_b64 s[22:23], s[26:27], exec
	;; [unrolled: 1-line block ×3, first 2 shown]
	s_or_b64 s[14:15], s[14:15], s[18:19]
	s_or_b64 exec, exec, s[16:17]
	s_mov_b64 s[16:17], 0
	s_and_saveexec_b64 s[18:19], s[14:15]
	s_cbranch_execz .LBB20_274
.LBB20_895:
	s_mov_b64 s[16:17], exec
	s_andn2_b64 s[20:21], s[20:21], exec
	s_trap 2
                                        ; implicit-def: $vgpr4
	s_or_b64 exec, exec, s[18:19]
	s_and_saveexec_b64 s[14:15], s[20:21]
	s_xor_b64 s[14:15], exec, s[14:15]
	s_cbranch_execnz .LBB20_275
.LBB20_896:
	s_or_b64 exec, exec, s[14:15]
	s_and_saveexec_b64 s[14:15], s[22:23]
	s_cbranch_execz .LBB20_942
.LBB20_897:
	v_cmp_gt_i16_e32 vcc, 5, v9
	s_cbranch_vccnz .LBB20_902
; %bb.898:
	v_cmp_gt_i16_e32 vcc, 8, v9
	s_cbranch_vccnz .LBB20_903
; %bb.899:
	;; [unrolled: 3-line block ×3, first 2 shown]
	v_cmp_lt_i16_e32 vcc, 9, v9
	s_cbranch_vccz .LBB20_905
; %bb.901:
	global_load_dwordx2 v[2:3], v[0:1], off
	s_mov_b64 s[18:19], 0
	s_waitcnt vmcnt(0)
	v_cvt_f32_f64_e32 v4, v[2:3]
	s_branch .LBB20_906
.LBB20_902:
                                        ; implicit-def: $vgpr4
	s_branch .LBB20_923
.LBB20_903:
                                        ; implicit-def: $vgpr4
	s_branch .LBB20_912
.LBB20_904:
	s_mov_b64 s[18:19], -1
                                        ; implicit-def: $vgpr4
	s_branch .LBB20_909
.LBB20_905:
	s_mov_b64 s[18:19], -1
                                        ; implicit-def: $vgpr4
.LBB20_906:
	s_andn2_b64 vcc, exec, s[18:19]
	s_cbranch_vccnz .LBB20_908
; %bb.907:
	global_load_dword v4, v[0:1], off
.LBB20_908:
	s_mov_b64 s[18:19], 0
.LBB20_909:
	s_andn2_b64 vcc, exec, s[18:19]
	s_cbranch_vccnz .LBB20_911
; %bb.910:
	global_load_dword v2, v[0:1], off
	s_waitcnt vmcnt(0)
	v_cvt_f32_f16_e32 v4, v2
.LBB20_911:
	s_cbranch_execnz .LBB20_922
.LBB20_912:
	v_cmp_gt_i16_e32 vcc, 6, v9
	s_cbranch_vccnz .LBB20_915
; %bb.913:
	v_cmp_lt_i16_e32 vcc, 6, v9
	s_cbranch_vccz .LBB20_916
; %bb.914:
	global_load_dwordx2 v[2:3], v[0:1], off
	s_mov_b64 s[18:19], 0
	s_waitcnt vmcnt(0)
	v_cvt_f32_f64_e32 v4, v[2:3]
	s_branch .LBB20_917
.LBB20_915:
	s_mov_b64 s[18:19], -1
                                        ; implicit-def: $vgpr4
	s_branch .LBB20_920
.LBB20_916:
	s_mov_b64 s[18:19], -1
                                        ; implicit-def: $vgpr4
.LBB20_917:
	s_andn2_b64 vcc, exec, s[18:19]
	s_cbranch_vccnz .LBB20_919
; %bb.918:
	global_load_dword v4, v[0:1], off
.LBB20_919:
	s_mov_b64 s[18:19], 0
.LBB20_920:
	s_andn2_b64 vcc, exec, s[18:19]
	s_cbranch_vccnz .LBB20_922
; %bb.921:
	global_load_ushort v2, v[0:1], off
	s_waitcnt vmcnt(0)
	v_cvt_f32_f16_e32 v4, v2
.LBB20_922:
	s_cbranch_execnz .LBB20_941
.LBB20_923:
	v_cmp_gt_i16_e32 vcc, 2, v9
	s_cbranch_vccnz .LBB20_927
; %bb.924:
	v_cmp_gt_i16_e32 vcc, 3, v9
	s_cbranch_vccnz .LBB20_928
; %bb.925:
	v_cmp_lt_i16_e32 vcc, 3, v9
	s_cbranch_vccz .LBB20_929
; %bb.926:
	global_load_dwordx2 v[2:3], v[0:1], off
	s_mov_b64 s[18:19], 0
	s_waitcnt vmcnt(0)
	v_xor_b32_e32 v5, v2, v3
	v_ffbh_i32_e32 v4, v3
	v_ashrrev_i32_e32 v5, 31, v5
	v_add_u32_e32 v4, -1, v4
	v_add_u32_e32 v5, 32, v5
	v_min_u32_e32 v4, v4, v5
	v_lshlrev_b64 v[2:3], v4, v[2:3]
	v_min_u32_e32 v2, 1, v2
	v_or_b32_e32 v2, v3, v2
	v_cvt_f32_i32_e32 v2, v2
	v_sub_u32_e32 v3, 32, v4
	v_ldexp_f32 v4, v2, v3
	s_branch .LBB20_930
.LBB20_927:
                                        ; implicit-def: $vgpr4
	s_branch .LBB20_936
.LBB20_928:
	s_mov_b64 s[18:19], -1
                                        ; implicit-def: $vgpr4
	s_branch .LBB20_933
.LBB20_929:
	s_mov_b64 s[18:19], -1
                                        ; implicit-def: $vgpr4
.LBB20_930:
	s_andn2_b64 vcc, exec, s[18:19]
	s_cbranch_vccnz .LBB20_932
; %bb.931:
	global_load_dword v2, v[0:1], off
	s_waitcnt vmcnt(0)
	v_cvt_f32_i32_e32 v4, v2
.LBB20_932:
	s_mov_b64 s[18:19], 0
.LBB20_933:
	s_andn2_b64 vcc, exec, s[18:19]
	s_cbranch_vccnz .LBB20_935
; %bb.934:
	global_load_sshort v2, v[0:1], off
	s_waitcnt vmcnt(0)
	v_cvt_f32_i32_e32 v4, v2
.LBB20_935:
	s_cbranch_execnz .LBB20_941
.LBB20_936:
	v_cmp_lt_i16_e32 vcc, 0, v9
	s_cbranch_vccz .LBB20_938
; %bb.937:
	global_load_sbyte v2, v[0:1], off
	s_mov_b64 s[18:19], 0
	s_waitcnt vmcnt(0)
	v_cvt_f32_i32_e32 v4, v2
	s_branch .LBB20_939
.LBB20_938:
	s_mov_b64 s[18:19], -1
                                        ; implicit-def: $vgpr4
.LBB20_939:
	s_andn2_b64 vcc, exec, s[18:19]
	s_cbranch_vccnz .LBB20_941
; %bb.940:
	global_load_ubyte v0, v[0:1], off
	s_waitcnt vmcnt(0)
	v_cvt_f32_ubyte0_e32 v4, v0
.LBB20_941:
	s_or_b64 s[0:1], s[0:1], exec
.LBB20_942:
	s_or_b64 exec, exec, s[14:15]
	s_mov_b64 s[20:21], 0
	s_mov_b64 s[18:19], 0
                                        ; implicit-def: $vgpr5
                                        ; implicit-def: $vgpr2_vgpr3
                                        ; implicit-def: $vgpr0
	s_and_saveexec_b64 s[14:15], s[0:1]
	s_cbranch_execz .LBB20_972
; %bb.943:
	s_waitcnt vmcnt(0)
	v_cmp_neq_f32_e32 vcc, 0, v4
	v_mov_b32_e32 v0, 0x7f800000
	s_and_saveexec_b64 s[18:19], vcc
	s_cbranch_execz .LBB20_955
; %bb.944:
	v_cmp_ngt_f32_e32 vcc, 0, v4
	v_mov_b32_e32 v0, 0x7fc00000
	s_and_saveexec_b64 s[20:21], vcc
	s_cbranch_execz .LBB20_954
; %bb.945:
	v_cmp_ge_f32_e32 vcc, 2.0, v4
                                        ; implicit-def: $vgpr0
	s_and_saveexec_b64 s[0:1], vcc
	s_xor_b64 s[22:23], exec, s[0:1]
	s_cbranch_execz .LBB20_951
; %bb.946:
	s_mov_b32 s0, 0x41000000
	v_mul_f32_e32 v0, 0.5, v4
	v_cmp_ge_f32_e32 vcc, s0, v4
                                        ; implicit-def: $vgpr2
                                        ; implicit-def: $vgpr1
	s_and_saveexec_b64 s[0:1], vcc
	s_xor_b64 s[0:1], exec, s[0:1]
	s_cbranch_execz .LBB20_948
; %bb.947:
	v_add_f32_e32 v1, -2.0, v0
	v_mov_b32_e32 v2, 0x24199b15
	v_fmac_f32_e32 v2, 0xa2a2e5b9, v1
	v_mov_b32_e32 v3, 0x22a2e5b9
	v_fmac_f32_e32 v3, v1, v2
	v_add_f32_e32 v3, 0xa58c275c, v3
	v_fma_f32 v2, v1, v3, -v2
	v_add_f32_e32 v2, 0x26f736c5, v2
	v_fma_f32 v3, v1, v2, -v3
	;; [unrolled: 2-line block ×23, first 2 shown]
	v_mul_f32_e32 v5, 0x3fb8aa3b, v4
	v_add_f32_e32 v2, 0x3d49f456, v2
	s_mov_b32 s24, 0x3fb8aa3b
	v_rndne_f32_e32 v6, v5
	v_fma_f32 v3, v1, v2, -v3
	v_sub_f32_e32 v7, v5, v6
	v_fma_f32 v5, v4, s24, -v5
	v_add_f32_e32 v3, 0xbdc25b82, v3
	v_fmac_f32_e32 v5, 0x32a5705f, v4
	v_fma_f32 v2, v1, v3, -v2
	v_add_f32_e32 v5, v7, v5
	v_add_f32_e32 v2, 0x3e2fbd64, v2
	v_exp_f32_e32 v5, v5
	v_cvt_i32_f32_e32 v6, v6
	v_fma_f32 v3, v1, v2, -v3
	v_add_f32_e32 v3, 0xbe9bff5e, v3
	v_fma_f32 v1, v1, v3, -v2
	s_mov_b32 s24, 0xc2ce8ed0
	v_add_f32_e32 v3, 0x3f2d4275, v1
	v_ldexp_f32 v1, v5, v6
	v_cmp_ngt_f32_e32 vcc, s24, v4
	s_mov_b32 s24, 0x42b17218
	v_cndmask_b32_e32 v1, 0, v1, vcc
	v_mov_b32_e32 v5, 0x7f800000
	v_cmp_nlt_f32_e32 vcc, s24, v4
	v_sub_f32_e32 v2, v3, v2
	v_cndmask_b32_e32 v1, v5, v1, vcc
	v_mul_f32_e32 v2, 0.5, v2
	v_mul_f32_e32 v2, v1, v2
.LBB20_948:
	s_andn2_saveexec_b64 s[24:25], s[0:1]
	s_cbranch_execz .LBB20_950
; %bb.949:
	s_mov_b32 s26, 0x42000000
	v_div_scale_f32 v1, s[0:1], v4, v4, s26
	v_rcp_f32_e32 v2, v1
	v_div_scale_f32 v3, vcc, s26, v4, s26
	s_mov_b32 s0, 0x3fb8aa3b
	v_fma_f32 v5, -v1, v2, 1.0
	v_fmac_f32_e32 v2, v5, v2
	v_mul_f32_e32 v5, v3, v2
	v_fma_f32 v6, -v1, v5, v3
	v_fmac_f32_e32 v5, v6, v2
	v_fma_f32 v1, -v1, v5, v3
	v_div_fmas_f32 v1, v1, v2, v5
	v_div_fixup_f32 v1, v1, v4, s26
	v_add_f32_e32 v1, -2.0, v1
	v_mov_b32_e32 v2, 0xa2b236d3
	v_fmac_f32_e32 v2, 0xa3056dbb, v1
	v_mov_b32_e32 v3, 0x23056dbb
	v_fmac_f32_e32 v3, v1, v2
	v_add_f32_e32 v3, 0x244df0c1, v3
	v_fma_f32 v2, v1, v3, -v2
	v_add_f32_e32 v2, 0x241f9ee8, v2
	v_fma_f32 v3, v1, v2, -v3
	;; [unrolled: 2-line block ×18, first 2 shown]
	v_mul_f32_e32 v5, 0x3fb8aa3b, v4
	v_add_f32_e32 v3, 0x345c003f, v3
	v_rndne_f32_e32 v6, v5
	v_fma_f32 v2, v1, v3, -v2
	v_sub_f32_e32 v7, v5, v6
	v_fma_f32 v5, v4, s0, -v5
	v_add_f32_e32 v2, 0x3642095e, v2
	v_fmac_f32_e32 v5, 0x32a5705f, v4
	v_fma_f32 v3, v1, v2, -v3
	v_add_f32_e32 v5, v7, v5
	v_add_f32_e32 v3, 0x38907d1c, v3
	v_exp_f32_e32 v5, v5
	v_cvt_i32_f32_e32 v6, v6
	v_fma_f32 v2, v1, v3, -v2
	v_add_f32_e32 v2, 0x3b5ccc65, v2
	v_fma_f32 v1, v1, v2, -v3
	s_mov_b32 s0, 0xc2ce8ed0
	v_add_f32_e32 v2, 0x3f4df315, v1
	v_ldexp_f32 v1, v5, v6
	v_cmp_ngt_f32_e32 vcc, s0, v4
	s_mov_b32 s0, 0x42b17218
	v_cndmask_b32_e32 v1, 0, v1, vcc
	v_mov_b32_e32 v5, 0x7f800000
	v_cmp_nlt_f32_e32 vcc, s0, v4
	s_mov_b32 s0, 0xf800000
	v_cndmask_b32_e32 v1, v5, v1, vcc
	v_mul_f32_e32 v5, 0x4f800000, v4
	v_cmp_gt_f32_e32 vcc, s0, v4
	v_cndmask_b32_e32 v5, v4, v5, vcc
	v_sqrt_f32_e32 v6, v5
	v_sub_f32_e32 v2, v2, v3
	v_mul_f32_e32 v2, 0.5, v2
	v_mul_f32_e32 v2, v1, v2
	v_add_u32_e32 v3, -1, v6
	v_fma_f32 v7, -v3, v6, v5
	v_cmp_ge_f32_e64 s[0:1], 0, v7
	v_add_u32_e32 v7, 1, v6
	v_cndmask_b32_e64 v3, v6, v3, s[0:1]
	v_fma_f32 v6, -v7, v6, v5
	v_cmp_lt_f32_e64 s[0:1], 0, v6
	v_cndmask_b32_e64 v3, v3, v7, s[0:1]
	v_mul_f32_e32 v6, 0x37800000, v3
	v_cndmask_b32_e32 v3, v3, v6, vcc
	v_mov_b32_e32 v6, 0x260
	v_cmp_class_f32_e32 vcc, v5, v6
	v_cndmask_b32_e32 v3, v3, v5, vcc
	v_div_scale_f32 v5, s[0:1], v3, v3, v2
	v_rcp_f32_e32 v6, v5
	v_fma_f32 v7, -v5, v6, 1.0
	v_fmac_f32_e32 v6, v7, v6
	v_div_scale_f32 v7, vcc, v2, v3, v2
	v_mul_f32_e32 v9, v7, v6
	v_fma_f32 v11, -v5, v9, v7
	v_fmac_f32_e32 v9, v11, v6
	v_fma_f32 v5, -v5, v9, v7
	v_div_fmas_f32 v5, v5, v6, v9
	v_div_fixup_f32 v2, v5, v3, v2
.LBB20_950:
	s_or_b64 exec, exec, s[24:25]
	v_fma_f32 v3, v4, v4, -2.0
	v_mov_b32_e32 v4, 0x293fd856
	v_fmac_f32_e32 v4, 0x251e770f, v3
	v_mov_b32_e32 v5, 0xa51e770f
	v_fmac_f32_e32 v5, v3, v4
	v_add_f32_e32 v5, 0x2d3612e2, v5
	v_fma_f32 v4, v3, v5, -v4
	v_add_f32_e32 v4, 0x3102e09b, v4
	v_fma_f32 v5, v3, v4, -v5
	;; [unrolled: 2-line block ×6, first 2 shown]
	v_add_f32_e32 v5, 0x3eb046c4, v5
	s_mov_b32 s0, 0x800000
	v_fma_f32 v3, v3, v5, -v4
	v_mov_b32_e32 v5, 0x4f800000
	v_cmp_gt_f32_e32 vcc, s0, v0
	v_cndmask_b32_e32 v5, 1.0, v5, vcc
	v_mul_f32_e32 v0, v0, v5
	v_log_f32_e32 v0, v0
	v_add_f32_e32 v3, 0xbf090b37, v3
	v_sub_f32_e32 v3, v3, v4
	s_mov_b32 s0, 0x3f317217
	v_mul_f32_e32 v4, 0x3f317217, v0
	v_fma_f32 v5, v0, s0, -v4
	v_fmac_f32_e32 v5, 0x3377d1cf, v0
	s_mov_b32 s0, 0x7f800000
	v_add_f32_e32 v4, v4, v5
	v_cmp_lt_f32_e64 s[0:1], |v0|, s0
	v_cndmask_b32_e64 v0, v0, v4, s[0:1]
	v_mov_b32_e32 v4, 0x41b17218
	v_cndmask_b32_e32 v4, 0, v4, vcc
	v_sub_f32_e32 v0, v0, v4
	v_mul_f32_e32 v0, v0, v2
	v_fma_f32 v0, v3, 0.5, -v0
	v_mul_f32_e32 v0, v1, v0
                                        ; implicit-def: $vgpr4
.LBB20_951:
	s_andn2_saveexec_b64 s[22:23], s[22:23]
	s_cbranch_execz .LBB20_953
; %bb.952:
	s_mov_b32 s24, 0x41000000
	v_div_scale_f32 v0, s[0:1], v4, v4, s24
	v_rcp_f32_e32 v1, v0
	v_div_scale_f32 v2, vcc, s24, v4, s24
	s_mov_b32 s0, 0xf800000
	v_fma_f32 v3, -v0, v1, 1.0
	v_fmac_f32_e32 v1, v3, v1
	v_mul_f32_e32 v3, v2, v1
	v_fma_f32 v5, -v0, v3, v2
	v_fmac_f32_e32 v3, v5, v1
	v_fma_f32 v0, -v0, v3, v2
	v_div_fmas_f32 v0, v0, v1, v3
	v_div_fixup_f32 v0, v0, v4, s24
	v_add_f32_e32 v0, -2.0, v0
	v_mov_b32_e32 v1, 0xa397f665
	v_fmac_f32_e32 v1, 0x22c38d2e, v0
	v_mov_b32_e32 v2, 0xa2c38d2e
	v_fmac_f32_e32 v2, v0, v1
	v_add_f32_e32 v2, 0x24704972, v2
	v_fma_f32 v1, v0, v2, -v1
	v_add_f32_e32 v1, 0xa5417ca4, v1
	v_fma_f32 v2, v0, v1, -v2
	;; [unrolled: 2-line block ×22, first 2 shown]
	v_mul_f32_e32 v1, 0x4f800000, v4
	v_cmp_gt_f32_e32 vcc, s0, v4
	v_cndmask_b32_e32 v1, v4, v1, vcc
	v_sqrt_f32_e32 v3, v1
	v_add_f32_e32 v0, 0x401c2ded, v0
	v_sub_f32_e32 v0, v0, v2
	v_mul_f32_e32 v0, 0.5, v0
	v_add_u32_e32 v2, -1, v3
	v_fma_f32 v4, -v2, v3, v1
	v_cmp_ge_f32_e64 s[0:1], 0, v4
	v_add_u32_e32 v4, 1, v3
	v_cndmask_b32_e64 v2, v3, v2, s[0:1]
	v_fma_f32 v3, -v4, v3, v1
	v_cmp_lt_f32_e64 s[0:1], 0, v3
	v_cndmask_b32_e64 v2, v2, v4, s[0:1]
	v_mul_f32_e32 v3, 0x37800000, v2
	v_cndmask_b32_e32 v2, v2, v3, vcc
	v_mov_b32_e32 v3, 0x260
	v_cmp_class_f32_e32 vcc, v1, v3
	v_cndmask_b32_e32 v1, v2, v1, vcc
	v_div_scale_f32 v2, s[0:1], v1, v1, v0
	v_rcp_f32_e32 v3, v2
	v_fma_f32 v4, -v2, v3, 1.0
	v_fmac_f32_e32 v3, v4, v3
	v_div_scale_f32 v4, vcc, v0, v1, v0
	v_mul_f32_e32 v5, v4, v3
	v_fma_f32 v6, -v2, v5, v4
	v_fmac_f32_e32 v5, v6, v3
	v_fma_f32 v2, -v2, v5, v4
	v_div_fmas_f32 v2, v2, v3, v5
	v_div_fixup_f32 v0, v2, v1, v0
.LBB20_953:
	s_or_b64 exec, exec, s[22:23]
.LBB20_954:
	s_or_b64 exec, exec, s[20:21]
.LBB20_955:
	s_or_b64 exec, exec, s[18:19]
	v_mul_lo_u32 v1, v8, s12
	v_ashrrev_i32_e32 v3, 31, v1
	v_mov_b32_e32 v4, s9
	v_add_co_u32_e32 v2, vcc, s8, v1
	v_addc_co_u32_e32 v3, vcc, v4, v3, vcc
	v_and_b32_e32 v5, 0xff, v10
	v_cmp_gt_i16_e32 vcc, 11, v5
	s_cbranch_vccnz .LBB20_975
; %bb.956:
	v_cmp_lt_i16_e32 vcc, 25, v5
	s_mov_b64 s[20:21], -1
	s_mov_b64 s[0:1], s[6:7]
	s_cbranch_vccz .LBB20_993
; %bb.957:
	v_cmp_lt_i16_e32 vcc, 28, v5
	s_mov_b64 s[18:19], -1
	s_mov_b64 s[0:1], s[6:7]
	s_cbranch_vccz .LBB20_977
; %bb.958:
	v_cmp_lt_i16_e32 vcc, 43, v5
	s_mov_b64 s[0:1], s[6:7]
	s_cbranch_vccz .LBB20_969
; %bb.959:
	v_cmp_lt_i16_e32 vcc, 45, v5
	s_mov_b64 s[0:1], s[6:7]
	s_cbranch_vccz .LBB20_963
; %bb.960:
	v_cmp_eq_u16_e32 vcc, 46, v5
	s_mov_b64 s[0:1], -1
	s_cbranch_vccz .LBB20_962
; %bb.961:
	v_bfe_u32 v1, v0, 16, 1
	s_movk_i32 s0, 0x7fff
	v_add3_u32 v1, v0, v1, s0
	v_lshrrev_b32_e32 v1, 16, v1
	v_mov_b32_e32 v4, 0x7fc0
	v_cmp_o_f32_e32 vcc, v0, v0
	v_cndmask_b32_e32 v1, v4, v1, vcc
	global_store_dword v[2:3], v1, off
	s_mov_b64 s[0:1], 0
.LBB20_962:
	s_mov_b64 s[18:19], 0
.LBB20_963:
	s_and_b64 vcc, exec, s[18:19]
	s_cbranch_vccz .LBB20_968
; %bb.964:
	v_cmp_eq_u16_e32 vcc, 44, v5
	s_mov_b64 s[0:1], -1
	s_cbranch_vccz .LBB20_968
; %bb.965:
	v_bfe_u32 v1, v0, 23, 8
	s_movk_i32 s0, 0xff
	v_cmp_ne_u32_e32 vcc, s0, v1
	v_mov_b32_e32 v4, 0xff
	s_and_saveexec_b64 s[18:19], vcc
; %bb.966:
	s_mov_b32 s0, 0x3fffff
	v_and_b32_e32 v6, 0x400000, v0
	v_and_or_b32 v1, v0, s0, v1
	v_cmp_ne_u32_e32 vcc, 0, v6
	v_cmp_ne_u32_e64 s[0:1], 0, v1
	s_and_b64 s[0:1], vcc, s[0:1]
	v_lshrrev_b32_e32 v4, 23, v0
	v_cndmask_b32_e64 v1, 0, 1, s[0:1]
	v_add_u32_e32 v4, v4, v1
; %bb.967:
	s_or_b64 exec, exec, s[18:19]
	s_mov_b64 s[0:1], 0
	global_store_byte v[2:3], v4, off
.LBB20_968:
	s_mov_b64 s[18:19], 0
.LBB20_969:
	s_and_b64 vcc, exec, s[18:19]
	s_cbranch_vccz .LBB20_976
; %bb.970:
	v_cmp_eq_u16_e32 vcc, 29, v5
	s_mov_b64 s[0:1], -1
	s_cbranch_vccz .LBB20_976
; %bb.971:
	v_trunc_f32_e32 v1, v0
	v_mul_f32_e32 v4, 0x2f800000, v1
	v_floor_f32_e32 v4, v4
	v_fmac_f32_e32 v1, 0xcf800000, v4
	v_cvt_u32_f32_e32 v7, v4
	v_cvt_u32_f32_e32 v6, v1
	s_mov_b64 s[0:1], 0
	s_mov_b64 s[18:19], 0
	global_store_dwordx2 v[2:3], v[6:7], off
	s_branch .LBB20_977
.LBB20_972:
	s_or_b64 exec, exec, s[14:15]
	s_and_saveexec_b64 s[0:1], s[6:7]
	s_cbranch_execnz .LBB20_1035
.LBB20_973:
	s_or_b64 exec, exec, s[0:1]
	s_and_saveexec_b64 s[0:1], s[20:21]
	s_xor_b64 s[0:1], exec, s[0:1]
	s_cbranch_execz .LBB20_1036
.LBB20_974:
	v_cmp_neq_f32_e32 vcc, 0, v0
	v_cndmask_b32_e64 v1, 0, 1, vcc
	s_waitcnt vmcnt(0)
	global_store_byte v[2:3], v1, off
	s_or_b64 exec, exec, s[0:1]
	s_and_saveexec_b64 s[0:1], s[18:19]
	s_xor_b64 s[0:1], exec, s[0:1]
	s_cbranch_execz .LBB20_1074
	s_branch .LBB20_1037
.LBB20_975:
	s_mov_b64 s[20:21], 0
	s_mov_b64 s[18:19], -1
	s_mov_b64 s[0:1], s[6:7]
	s_branch .LBB20_1034
.LBB20_976:
	s_mov_b64 s[18:19], 0
.LBB20_977:
	s_and_b64 vcc, exec, s[18:19]
	s_cbranch_vccz .LBB20_992
; %bb.978:
	v_cmp_gt_i16_e32 vcc, 27, v5
	s_mov_b64 s[18:19], -1
	s_cbranch_vccnz .LBB20_984
; %bb.979:
	v_cvt_u32_f32_e32 v1, v0
	v_cmp_lt_i16_e32 vcc, 27, v5
	s_cbranch_vccz .LBB20_981
; %bb.980:
	s_mov_b64 s[18:19], 0
	global_store_dword v[2:3], v1, off
.LBB20_981:
	s_andn2_b64 vcc, exec, s[18:19]
	s_cbranch_vccnz .LBB20_983
; %bb.982:
	global_store_short v[2:3], v1, off
.LBB20_983:
	s_mov_b64 s[18:19], 0
.LBB20_984:
	s_andn2_b64 vcc, exec, s[18:19]
	s_cbranch_vccnz .LBB20_992
; %bb.985:
	v_and_b32_e32 v1, 0x7fffffff, v0
	s_mov_b32 s18, 0x43800000
	v_cmp_gt_u32_e32 vcc, s18, v1
	v_mov_b32_e32 v4, 0x80
	s_and_saveexec_b64 s[18:19], vcc
	s_cbranch_execz .LBB20_991
; %bb.986:
	s_mov_b32 s20, 0x3bffffff
	v_cmp_lt_u32_e32 vcc, s20, v1
	s_mov_b64 s[20:21], 0
                                        ; implicit-def: $vgpr1
	s_and_saveexec_b64 s[22:23], vcc
	s_xor_b64 s[22:23], exec, s[22:23]
	s_cbranch_execz .LBB20_1089
; %bb.987:
	v_bfe_u32 v1, v0, 20, 1
	s_mov_b32 s24, 0x487ffff
	v_add3_u32 v1, v0, v1, s24
	s_mov_b64 s[20:21], exec
	v_lshrrev_b32_e32 v1, 20, v1
	s_or_saveexec_b64 s[22:23], s[22:23]
                                        ; implicit-def: $sgpr24
	s_xor_b64 exec, exec, s[22:23]
	s_cbranch_execnz .LBB20_1090
.LBB20_988:
	s_or_b64 exec, exec, s[22:23]
	v_mov_b32_e32 v4, s24
	s_and_saveexec_b64 s[22:23], s[20:21]
.LBB20_989:
	v_lshrrev_b32_e32 v4, 24, v0
	s_movk_i32 s20, 0x80
	v_and_or_b32 v4, v4, s20, v1
.LBB20_990:
	s_or_b64 exec, exec, s[22:23]
.LBB20_991:
	s_or_b64 exec, exec, s[18:19]
	global_store_byte v[2:3], v4, off
.LBB20_992:
	s_mov_b64 s[20:21], 0
.LBB20_993:
	s_mov_b64 s[18:19], 0
	s_and_b64 vcc, exec, s[20:21]
	s_cbranch_vccz .LBB20_1033
; %bb.994:
	v_cmp_lt_i16_e32 vcc, 22, v5
	s_mov_b64 s[20:21], -1
	s_cbranch_vccz .LBB20_1026
; %bb.995:
	v_cmp_gt_i16_e32 vcc, 24, v5
	s_cbranch_vccnz .LBB20_1015
; %bb.996:
	v_cmp_lt_i16_e32 vcc, 24, v5
	s_cbranch_vccz .LBB20_1004
; %bb.997:
	v_and_b32_e32 v1, 0x7fffffff, v0
	s_mov_b32 s20, 0x47800000
	v_cmp_gt_u32_e32 vcc, s20, v1
	v_mov_b32_e32 v4, 0x80
	s_and_saveexec_b64 s[20:21], vcc
	s_cbranch_execz .LBB20_1003
; %bb.998:
	s_mov_b32 s22, 0x37ffffff
	v_cmp_lt_u32_e32 vcc, s22, v1
	s_mov_b64 s[22:23], 0
                                        ; implicit-def: $vgpr1
	s_and_saveexec_b64 s[24:25], vcc
	s_xor_b64 s[24:25], exec, s[24:25]
	s_cbranch_execz .LBB20_1226
; %bb.999:
	v_bfe_u32 v1, v0, 21, 1
	s_mov_b32 s26, 0x88fffff
	v_add3_u32 v1, v0, v1, s26
	s_mov_b64 s[22:23], exec
	v_lshrrev_b32_e32 v1, 21, v1
	s_or_saveexec_b64 s[24:25], s[24:25]
                                        ; implicit-def: $sgpr26
	s_xor_b64 exec, exec, s[24:25]
	s_cbranch_execnz .LBB20_1227
.LBB20_1000:
	s_or_b64 exec, exec, s[24:25]
	v_mov_b32_e32 v4, s26
	s_and_saveexec_b64 s[24:25], s[22:23]
.LBB20_1001:
	v_lshrrev_b32_e32 v4, 24, v0
	s_movk_i32 s22, 0x80
	v_and_or_b32 v4, v4, s22, v1
.LBB20_1002:
	s_or_b64 exec, exec, s[24:25]
.LBB20_1003:
	s_or_b64 exec, exec, s[20:21]
	s_mov_b64 s[20:21], 0
	global_store_byte v[2:3], v4, off
.LBB20_1004:
	s_and_b64 vcc, exec, s[20:21]
	s_cbranch_vccz .LBB20_1014
; %bb.1005:
	v_and_b32_e32 v4, 0x7fffffff, v0
	s_mov_b32 s20, 0x43f00000
	v_cmp_gt_u32_e32 vcc, s20, v4
                                        ; implicit-def: $vgpr1
	s_and_saveexec_b64 s[20:21], vcc
	s_xor_b64 s[20:21], exec, s[20:21]
	s_cbranch_execz .LBB20_1011
; %bb.1006:
	s_mov_b32 s22, 0x3c7fffff
	v_cmp_lt_u32_e32 vcc, s22, v4
                                        ; implicit-def: $vgpr1
	s_and_saveexec_b64 s[22:23], vcc
	s_xor_b64 s[22:23], exec, s[22:23]
; %bb.1007:
	v_bfe_u32 v1, v0, 20, 1
	s_mov_b32 s24, 0x407ffff
	v_add3_u32 v1, v0, v1, s24
	v_lshrrev_b32_e32 v4, 20, v1
	v_and_b32_e32 v1, 0xff00000, v1
	s_mov_b32 s24, 0x7f00000
	v_mov_b32_e32 v6, 0x7e
	v_cmp_ne_u32_e32 vcc, s24, v1
	v_cndmask_b32_e32 v1, v6, v4, vcc
; %bb.1008:
	s_andn2_saveexec_b64 s[22:23], s[22:23]
; %bb.1009:
	s_mov_b32 s24, 0x46800000
	v_add_f32_e64 v1, |v0|, s24
; %bb.1010:
	s_or_b64 exec, exec, s[22:23]
                                        ; implicit-def: $vgpr4
.LBB20_1011:
	s_andn2_saveexec_b64 s[20:21], s[20:21]
; %bb.1012:
	s_mov_b32 s22, 0x7f800000
	v_mov_b32_e32 v1, 0x7e
	v_mov_b32_e32 v6, 0x7f
	v_cmp_lt_u32_e32 vcc, s22, v4
	v_cndmask_b32_e32 v1, v1, v6, vcc
; %bb.1013:
	s_or_b64 exec, exec, s[20:21]
	v_lshrrev_b32_e32 v4, 24, v0
	s_movk_i32 s20, 0x80
	v_and_or_b32 v1, v4, s20, v1
	global_store_byte v[2:3], v1, off
.LBB20_1014:
	s_mov_b64 s[20:21], 0
.LBB20_1015:
	s_andn2_b64 vcc, exec, s[20:21]
	s_cbranch_vccnz .LBB20_1025
; %bb.1016:
	v_and_b32_e32 v4, 0x7fffffff, v0
	s_mov_b32 s20, 0x47800000
	v_cmp_gt_u32_e32 vcc, s20, v4
                                        ; implicit-def: $vgpr1
	s_and_saveexec_b64 s[20:21], vcc
	s_xor_b64 s[20:21], exec, s[20:21]
	s_cbranch_execz .LBB20_1022
; %bb.1017:
	s_mov_b32 s22, 0x387fffff
	v_cmp_lt_u32_e32 vcc, s22, v4
                                        ; implicit-def: $vgpr1
	s_and_saveexec_b64 s[22:23], vcc
	s_xor_b64 s[22:23], exec, s[22:23]
; %bb.1018:
	v_bfe_u32 v1, v0, 21, 1
	s_mov_b32 s24, 0x80fffff
	v_add3_u32 v1, v0, v1, s24
	v_lshrrev_b32_e32 v1, 21, v1
; %bb.1019:
	s_andn2_saveexec_b64 s[22:23], s[22:23]
; %bb.1020:
	s_mov_b32 s24, 0x43000000
	v_add_f32_e64 v1, |v0|, s24
; %bb.1021:
	s_or_b64 exec, exec, s[22:23]
                                        ; implicit-def: $vgpr4
.LBB20_1022:
	s_andn2_saveexec_b64 s[20:21], s[20:21]
; %bb.1023:
	s_mov_b32 s22, 0x7f800000
	v_mov_b32_e32 v1, 0x7c
	v_mov_b32_e32 v6, 0x7f
	v_cmp_lt_u32_e32 vcc, s22, v4
	v_cndmask_b32_e32 v1, v1, v6, vcc
; %bb.1024:
	s_or_b64 exec, exec, s[20:21]
	v_lshrrev_b32_e32 v4, 24, v0
	s_movk_i32 s20, 0x80
	v_and_or_b32 v1, v4, s20, v1
	global_store_byte v[2:3], v1, off
.LBB20_1025:
	s_mov_b64 s[20:21], 0
.LBB20_1026:
	s_andn2_b64 vcc, exec, s[20:21]
	s_mov_b64 s[20:21], 0
	s_cbranch_vccnz .LBB20_1034
; %bb.1027:
	v_cmp_lt_i16_e32 vcc, 14, v5
	s_mov_b64 s[22:23], -1
	s_cbranch_vccz .LBB20_1031
; %bb.1028:
	v_cmp_eq_u16_e32 vcc, 15, v5
	s_mov_b64 s[0:1], -1
	s_cbranch_vccz .LBB20_1030
; %bb.1029:
	v_bfe_u32 v1, v0, 16, 1
	s_movk_i32 s0, 0x7fff
	v_add3_u32 v1, v0, v1, s0
	v_lshrrev_b32_e32 v1, 16, v1
	v_mov_b32_e32 v4, 0x7fc0
	v_cmp_o_f32_e32 vcc, v0, v0
	v_cndmask_b32_e32 v1, v4, v1, vcc
	global_store_short v[2:3], v1, off
	s_mov_b64 s[0:1], 0
.LBB20_1030:
	s_mov_b64 s[22:23], 0
.LBB20_1031:
	s_and_b64 vcc, exec, s[22:23]
	s_cbranch_vccz .LBB20_1034
; %bb.1032:
	v_cmp_ne_u16_e32 vcc, 11, v5
	s_andn2_b64 s[0:1], s[0:1], exec
	s_and_b64 s[22:23], vcc, exec
	s_mov_b64 s[20:21], -1
	s_or_b64 s[0:1], s[0:1], s[22:23]
	s_branch .LBB20_1034
.LBB20_1033:
	s_mov_b64 s[20:21], 0
.LBB20_1034:
	s_andn2_b64 s[6:7], s[6:7], exec
	s_and_b64 s[0:1], s[0:1], exec
	s_and_b64 s[18:19], s[18:19], exec
	;; [unrolled: 1-line block ×3, first 2 shown]
	s_or_b64 s[6:7], s[6:7], s[0:1]
	s_or_b64 exec, exec, s[14:15]
	s_and_saveexec_b64 s[0:1], s[6:7]
	s_cbranch_execz .LBB20_973
.LBB20_1035:
	s_or_b64 s[16:17], s[16:17], exec
	s_andn2_b64 s[20:21], s[20:21], exec
	s_trap 2
	s_or_b64 exec, exec, s[0:1]
	s_and_saveexec_b64 s[0:1], s[20:21]
	s_xor_b64 s[0:1], exec, s[0:1]
	s_cbranch_execnz .LBB20_974
.LBB20_1036:
	s_or_b64 exec, exec, s[0:1]
	s_and_saveexec_b64 s[0:1], s[18:19]
	s_xor_b64 s[0:1], exec, s[0:1]
	s_cbranch_execz .LBB20_1074
.LBB20_1037:
	v_cmp_gt_i16_e32 vcc, 5, v5
	s_mov_b64 s[6:7], -1
	s_cbranch_vccnz .LBB20_1058
; %bb.1038:
	v_cmp_gt_i16_e32 vcc, 8, v5
	s_cbranch_vccnz .LBB20_1048
; %bb.1039:
	v_cmp_gt_i16_e32 vcc, 9, v5
	s_cbranch_vccnz .LBB20_1045
; %bb.1040:
	v_cmp_lt_i16_e32 vcc, 9, v5
	s_cbranch_vccz .LBB20_1042
; %bb.1041:
	v_mov_b32_e32 v8, 0
	v_cvt_f64_f32_e32 v[6:7], v0
	v_mov_b32_e32 v9, v8
	s_mov_b64 s[6:7], 0
	s_waitcnt vmcnt(0)
	global_store_dwordx4 v[2:3], v[6:9], off
.LBB20_1042:
	s_andn2_b64 vcc, exec, s[6:7]
	s_cbranch_vccnz .LBB20_1044
; %bb.1043:
	v_mov_b32_e32 v1, 0
	s_waitcnt vmcnt(0)
	global_store_dwordx2 v[2:3], v[0:1], off
.LBB20_1044:
	s_mov_b64 s[6:7], 0
.LBB20_1045:
	s_andn2_b64 vcc, exec, s[6:7]
	s_cbranch_vccnz .LBB20_1047
; %bb.1046:
	v_cvt_f16_f32_e32 v1, v0
	s_waitcnt vmcnt(0)
	global_store_dword v[2:3], v1, off
.LBB20_1047:
	s_mov_b64 s[6:7], 0
.LBB20_1048:
	s_andn2_b64 vcc, exec, s[6:7]
	s_cbranch_vccnz .LBB20_1057
; %bb.1049:
	v_cmp_gt_i16_e32 vcc, 6, v5
	s_mov_b64 s[6:7], -1
	s_cbranch_vccnz .LBB20_1055
; %bb.1050:
	v_cmp_lt_i16_e32 vcc, 6, v5
	s_cbranch_vccz .LBB20_1052
; %bb.1051:
	v_cvt_f64_f32_e32 v[6:7], v0
	s_mov_b64 s[6:7], 0
	s_waitcnt vmcnt(0)
	global_store_dwordx2 v[2:3], v[6:7], off
.LBB20_1052:
	s_andn2_b64 vcc, exec, s[6:7]
	s_cbranch_vccnz .LBB20_1054
; %bb.1053:
	s_waitcnt vmcnt(0)
	global_store_dword v[2:3], v0, off
.LBB20_1054:
	s_mov_b64 s[6:7], 0
.LBB20_1055:
	s_andn2_b64 vcc, exec, s[6:7]
	s_cbranch_vccnz .LBB20_1057
; %bb.1056:
	v_cvt_f16_f32_e32 v1, v0
	s_waitcnt vmcnt(0)
	global_store_short v[2:3], v1, off
.LBB20_1057:
	s_mov_b64 s[6:7], 0
.LBB20_1058:
	s_andn2_b64 vcc, exec, s[6:7]
	s_cbranch_vccnz .LBB20_1074
; %bb.1059:
	v_cmp_gt_i16_e32 vcc, 2, v5
	s_mov_b64 s[6:7], -1
	s_cbranch_vccnz .LBB20_1069
; %bb.1060:
	v_cmp_gt_i16_e32 vcc, 3, v5
	s_cbranch_vccnz .LBB20_1066
; %bb.1061:
	v_cmp_lt_i16_e32 vcc, 3, v5
	s_cbranch_vccz .LBB20_1063
; %bb.1062:
	v_trunc_f32_e32 v1, v0
	s_mov_b32 s6, 0x2f800000
	s_waitcnt vmcnt(0)
	v_mul_f32_e64 v4, |v1|, s6
	v_floor_f32_e32 v4, v4
	s_mov_b32 s6, 0xcf800000
	v_cvt_u32_f32_e32 v6, v4
	v_fma_f32 v4, v4, s6, |v1|
	v_cvt_u32_f32_e32 v4, v4
	v_ashrrev_i32_e32 v1, 31, v1
	v_xor_b32_e32 v7, v6, v1
	s_mov_b64 s[6:7], 0
	v_xor_b32_e32 v4, v4, v1
	v_sub_co_u32_e32 v6, vcc, v4, v1
	v_subb_co_u32_e32 v7, vcc, v7, v1, vcc
	global_store_dwordx2 v[2:3], v[6:7], off
.LBB20_1063:
	s_andn2_b64 vcc, exec, s[6:7]
	s_cbranch_vccnz .LBB20_1065
; %bb.1064:
	v_cvt_i32_f32_e32 v1, v0
	s_waitcnt vmcnt(0)
	global_store_dword v[2:3], v1, off
.LBB20_1065:
	s_mov_b64 s[6:7], 0
.LBB20_1066:
	s_andn2_b64 vcc, exec, s[6:7]
	s_cbranch_vccnz .LBB20_1068
; %bb.1067:
	v_cvt_i32_f32_e32 v1, v0
	s_waitcnt vmcnt(0)
	global_store_short v[2:3], v1, off
.LBB20_1068:
	s_mov_b64 s[6:7], 0
.LBB20_1069:
	s_andn2_b64 vcc, exec, s[6:7]
	s_cbranch_vccnz .LBB20_1074
; %bb.1070:
	v_cmp_lt_i16_e32 vcc, 0, v5
	s_mov_b64 s[6:7], -1
	s_cbranch_vccz .LBB20_1072
; %bb.1071:
	v_cvt_i32_f32_e32 v1, v0
	s_mov_b64 s[6:7], 0
	s_waitcnt vmcnt(0)
	global_store_byte v[2:3], v1, off
.LBB20_1072:
	s_andn2_b64 vcc, exec, s[6:7]
	s_cbranch_vccnz .LBB20_1074
; %bb.1073:
	v_trunc_f32_e32 v0, v0
	s_mov_b32 s6, 0x2f800000
	v_mul_f32_e64 v1, |v0|, s6
	v_floor_f32_e32 v1, v1
	s_mov_b32 s6, 0xcf800000
	v_fma_f32 v1, v1, s6, |v0|
	v_cvt_u32_f32_e32 v1, v1
	v_ashrrev_i32_e32 v0, 31, v0
	v_xor_b32_e32 v1, v1, v0
	v_sub_u32_e32 v0, v1, v0
	s_waitcnt vmcnt(0)
	global_store_byte v[2:3], v0, off
.LBB20_1074:
	s_or_b64 exec, exec, s[0:1]
	s_and_b64 s[6:7], s[16:17], exec
                                        ; implicit-def: $vgpr8
                                        ; implicit-def: $vgpr9
                                        ; implicit-def: $vgpr10
.LBB20_1075:
	s_or_saveexec_b64 s[4:5], s[4:5]
	s_mov_b64 s[0:1], 0
                                        ; implicit-def: $vgpr2
                                        ; implicit-def: $vgpr0_vgpr1
                                        ; implicit-def: $vgpr6
	s_xor_b64 exec, exec, s[4:5]
	s_cbranch_execz .LBB20_1646
; %bb.1076:
	s_waitcnt vmcnt(0)
	v_mul_lo_u32 v2, s13, v8
	v_ashrrev_i32_e32 v1, 31, v2
	v_mov_b32_e32 v3, s11
	v_add_co_u32_e32 v0, vcc, s10, v2
	v_addc_co_u32_e32 v1, vcc, v3, v1, vcc
	v_cmp_gt_i16_e64 s[0:1], 11, v9
	s_and_b64 vcc, exec, s[0:1]
	s_cbranch_vccnz .LBB20_1083
; %bb.1077:
	v_cmp_lt_i16_e32 vcc, 25, v9
	s_mov_b64 s[16:17], 0
	s_cbranch_vccz .LBB20_1085
; %bb.1078:
	v_cmp_lt_i16_e32 vcc, 28, v9
	s_cbranch_vccz .LBB20_1086
; %bb.1079:
	v_cmp_lt_i16_e32 vcc, 43, v9
	;; [unrolled: 3-line block ×3, first 2 shown]
	s_cbranch_vccz .LBB20_1088
; %bb.1081:
	v_cmp_eq_u16_e32 vcc, 46, v9
	s_mov_b64 s[14:15], 0
	s_cbranch_vccz .LBB20_1091
; %bb.1082:
	global_load_dword v3, v[0:1], off
	s_mov_b64 s[18:19], -1
	s_waitcnt vmcnt(0)
	v_lshlrev_b32_e32 v3, 16, v3
	s_branch .LBB20_1092
.LBB20_1083:
	s_mov_b64 s[18:19], 0
                                        ; implicit-def: $vgpr3
	s_mov_b64 s[14:15], s[6:7]
	s_cbranch_execnz .LBB20_1155
.LBB20_1084:
	s_andn2_b64 vcc, exec, s[18:19]
	s_cbranch_vccz .LBB20_1200
	s_branch .LBB20_1643
.LBB20_1085:
	s_mov_b64 s[18:19], 0
                                        ; implicit-def: $vgpr3
	s_cbranch_execnz .LBB20_1120
	s_branch .LBB20_1151
.LBB20_1086:
	s_mov_b64 s[14:15], -1
	s_mov_b64 s[18:19], 0
                                        ; implicit-def: $vgpr3
	s_branch .LBB20_1101
.LBB20_1087:
	s_mov_b64 s[18:19], 0
                                        ; implicit-def: $vgpr3
	s_cbranch_execnz .LBB20_1097
	s_branch .LBB20_1100
.LBB20_1088:
	s_mov_b64 s[14:15], -1
	s_mov_b64 s[18:19], 0
                                        ; implicit-def: $vgpr3
	s_branch .LBB20_1092
.LBB20_1089:
	s_or_saveexec_b64 s[22:23], s[22:23]
                                        ; implicit-def: $sgpr24
	s_xor_b64 exec, exec, s[22:23]
	s_cbranch_execz .LBB20_988
.LBB20_1090:
	s_mov_b32 s24, 0x46000000
	v_add_f32_e64 v1, |v0|, s24
	v_and_b32_e32 v1, 0xff, v1
	v_cmp_ne_u32_e32 vcc, 0, v1
	s_andn2_b64 s[20:21], s[20:21], exec
	s_and_b64 s[26:27], vcc, exec
	s_mov_b32 s24, 0
	s_or_b64 s[20:21], s[20:21], s[26:27]
	s_or_b64 exec, exec, s[22:23]
	v_mov_b32_e32 v4, s24
	s_and_saveexec_b64 s[22:23], s[20:21]
	s_cbranch_execnz .LBB20_989
	s_branch .LBB20_990
.LBB20_1091:
	s_mov_b64 s[2:3], -1
                                        ; implicit-def: $vgpr3
	s_mov_b64 s[18:19], 0
.LBB20_1092:
	s_and_b64 vcc, exec, s[14:15]
	s_cbranch_vccz .LBB20_1095
; %bb.1093:
	v_cmp_eq_u16_e32 vcc, 44, v9
	s_cbranch_vccz .LBB20_1096
; %bb.1094:
	global_load_ubyte v3, v[0:1], off
	s_movk_i32 s14, 0xff
	v_mov_b32_e32 v4, 0x7f800001
	v_mov_b32_e32 v5, 0x400000
	s_mov_b64 s[2:3], 0
	s_mov_b64 s[18:19], -1
	s_waitcnt vmcnt(0)
	v_lshlrev_b32_e32 v6, 23, v3
	v_cmp_ne_u32_e32 vcc, s14, v3
	v_cndmask_b32_e32 v4, v4, v6, vcc
	v_cmp_ne_u32_e32 vcc, 0, v3
	v_cndmask_b32_e32 v3, v5, v4, vcc
.LBB20_1095:
	s_branch .LBB20_1100
.LBB20_1096:
	s_mov_b64 s[2:3], -1
                                        ; implicit-def: $vgpr3
	s_branch .LBB20_1100
.LBB20_1097:
	v_cmp_eq_u16_e32 vcc, 29, v9
	s_cbranch_vccz .LBB20_1099
; %bb.1098:
	global_load_dwordx2 v[4:5], v[0:1], off
	s_mov_b64 s[2:3], 0
	s_mov_b64 s[18:19], -1
	s_mov_b64 s[14:15], 0
	s_waitcnt vmcnt(0)
	v_ffbh_u32_e32 v3, v5
	v_min_u32_e32 v3, 32, v3
	v_lshlrev_b64 v[4:5], v3, v[4:5]
	v_min_u32_e32 v4, 1, v4
	v_or_b32_e32 v4, v5, v4
	v_cvt_f32_u32_e32 v4, v4
	v_sub_u32_e32 v3, 32, v3
	v_ldexp_f32 v3, v4, v3
	s_branch .LBB20_1101
.LBB20_1099:
	s_mov_b64 s[2:3], -1
                                        ; implicit-def: $vgpr3
.LBB20_1100:
	s_mov_b64 s[14:15], 0
.LBB20_1101:
	s_and_b64 vcc, exec, s[14:15]
	s_cbranch_vccz .LBB20_1119
; %bb.1102:
	v_cmp_gt_i16_e32 vcc, 27, v9
	s_cbranch_vccnz .LBB20_1105
; %bb.1103:
	v_cmp_lt_i16_e32 vcc, 27, v9
	s_cbranch_vccz .LBB20_1106
; %bb.1104:
	global_load_dword v3, v[0:1], off
	s_mov_b64 s[14:15], 0
	s_waitcnt vmcnt(0)
	v_cvt_f32_u32_e32 v3, v3
	s_branch .LBB20_1107
.LBB20_1105:
	s_mov_b64 s[14:15], -1
                                        ; implicit-def: $vgpr3
	s_branch .LBB20_1110
.LBB20_1106:
	s_mov_b64 s[14:15], -1
                                        ; implicit-def: $vgpr3
.LBB20_1107:
	s_andn2_b64 vcc, exec, s[14:15]
	s_cbranch_vccnz .LBB20_1109
; %bb.1108:
	global_load_ushort v3, v[0:1], off
	s_waitcnt vmcnt(0)
	v_cvt_f32_u32_e32 v3, v3
.LBB20_1109:
	s_mov_b64 s[14:15], 0
.LBB20_1110:
	s_andn2_b64 vcc, exec, s[14:15]
	s_cbranch_vccnz .LBB20_1118
; %bb.1111:
	global_load_ubyte v4, v[0:1], off
	s_movk_i32 s14, 0x7f
                                        ; implicit-def: $sgpr22
	s_waitcnt vmcnt(0)
	v_cmp_lt_i16_e32 vcc, s14, v4
	s_mov_b64 s[14:15], 0
	s_and_saveexec_b64 s[18:19], vcc
	s_xor_b64 s[18:19], exec, s[18:19]
	s_cbranch_execz .LBB20_1131
; %bb.1112:
	s_movk_i32 s14, 0x80
	v_cmp_eq_u16_e32 vcc, s14, v4
	s_mov_b64 s[14:15], -1
                                        ; implicit-def: $sgpr22
	s_and_saveexec_b64 s[20:21], vcc
; %bb.1113:
	s_mov_b32 s22, 0x7f800001
	s_xor_b64 s[14:15], exec, -1
; %bb.1114:
	s_or_b64 exec, exec, s[20:21]
	s_and_b64 s[14:15], s[14:15], exec
	s_or_saveexec_b64 s[18:19], s[18:19]
	v_mov_b32_e32 v3, s22
	s_xor_b64 exec, exec, s[18:19]
	s_cbranch_execnz .LBB20_1132
.LBB20_1115:
	s_or_b64 exec, exec, s[18:19]
	s_and_saveexec_b64 s[18:19], s[14:15]
	s_cbranch_execz .LBB20_1117
.LBB20_1116:
	v_lshlrev_b32_e32 v3, 24, v4
	v_and_b32_e32 v4, 0xffff, v4
	v_and_b32_e32 v5, 7, v4
	v_ffbh_u32_e32 v7, v5
	v_min_u32_e32 v7, 32, v7
	v_subrev_u32_e32 v11, 28, v7
	v_bfe_u32 v6, v4, 3, 4
	v_lshlrev_b32_e32 v4, v11, v4
	v_sub_u32_e32 v7, 29, v7
	v_and_b32_e32 v4, 7, v4
	v_cmp_eq_u32_e32 vcc, 0, v6
	v_cndmask_b32_e32 v6, v6, v7, vcc
	v_cndmask_b32_e32 v4, v5, v4, vcc
	v_mov_b32_e32 v5, 0x3b800000
	v_lshlrev_b32_e32 v4, 20, v4
	v_and_b32_e32 v3, 0x80000000, v3
	v_lshl_add_u32 v5, v6, 23, v5
	v_or3_b32 v3, v3, v5, v4
.LBB20_1117:
	s_or_b64 exec, exec, s[18:19]
.LBB20_1118:
	s_mov_b64 s[18:19], -1
.LBB20_1119:
	s_branch .LBB20_1151
.LBB20_1120:
	v_cmp_lt_i16_e32 vcc, 22, v9
	s_cbranch_vccz .LBB20_1130
; %bb.1121:
	v_cmp_gt_i16_e32 vcc, 24, v9
	s_cbranch_vccnz .LBB20_1133
; %bb.1122:
	v_cmp_lt_i16_e32 vcc, 24, v9
	s_cbranch_vccz .LBB20_1134
; %bb.1123:
	global_load_ubyte v4, v[0:1], off
	s_movk_i32 s14, 0x7f
                                        ; implicit-def: $sgpr20
	s_waitcnt vmcnt(0)
	v_cmp_lt_i16_e32 vcc, s14, v4
	s_mov_b64 s[14:15], 0
	s_and_saveexec_b64 s[16:17], vcc
	s_xor_b64 s[16:17], exec, s[16:17]
	s_cbranch_execz .LBB20_1145
; %bb.1124:
	s_movk_i32 s14, 0x80
	v_cmp_eq_u16_e32 vcc, s14, v4
	s_mov_b64 s[14:15], -1
                                        ; implicit-def: $sgpr20
	s_and_saveexec_b64 s[18:19], vcc
; %bb.1125:
	s_mov_b32 s20, 0x7f800001
	s_xor_b64 s[14:15], exec, -1
; %bb.1126:
	s_or_b64 exec, exec, s[18:19]
	s_and_b64 s[14:15], s[14:15], exec
	s_or_saveexec_b64 s[16:17], s[16:17]
	v_mov_b32_e32 v3, s20
	s_xor_b64 exec, exec, s[16:17]
	s_cbranch_execnz .LBB20_1146
.LBB20_1127:
	s_or_b64 exec, exec, s[16:17]
	s_and_saveexec_b64 s[16:17], s[14:15]
	s_cbranch_execz .LBB20_1129
.LBB20_1128:
	v_lshlrev_b32_e32 v3, 24, v4
	v_and_b32_e32 v4, 0xffff, v4
	v_and_b32_e32 v5, 3, v4
	v_ffbh_u32_e32 v7, v5
	v_min_u32_e32 v7, 32, v7
	v_subrev_u32_e32 v11, 29, v7
	v_bfe_u32 v6, v4, 2, 5
	v_lshlrev_b32_e32 v4, v11, v4
	v_sub_u32_e32 v7, 30, v7
	v_and_b32_e32 v4, 3, v4
	v_cmp_eq_u32_e32 vcc, 0, v6
	v_cndmask_b32_e32 v6, v6, v7, vcc
	v_cndmask_b32_e32 v4, v5, v4, vcc
	v_mov_b32_e32 v5, 0x37800000
	v_lshlrev_b32_e32 v4, 21, v4
	v_and_b32_e32 v3, 0x80000000, v3
	v_lshl_add_u32 v5, v6, 23, v5
	v_or3_b32 v3, v3, v5, v4
.LBB20_1129:
	s_or_b64 exec, exec, s[16:17]
	s_mov_b64 s[14:15], 0
	s_branch .LBB20_1135
.LBB20_1130:
                                        ; implicit-def: $vgpr3
	s_mov_b64 s[16:17], 0
	s_branch .LBB20_1141
.LBB20_1131:
	s_or_saveexec_b64 s[18:19], s[18:19]
	v_mov_b32_e32 v3, s22
	s_xor_b64 exec, exec, s[18:19]
	s_cbranch_execz .LBB20_1115
.LBB20_1132:
	v_cmp_ne_u16_e32 vcc, 0, v4
	s_andn2_b64 s[14:15], s[14:15], exec
	s_and_b64 s[20:21], vcc, exec
	v_mov_b32_e32 v3, 0
	s_or_b64 s[14:15], s[14:15], s[20:21]
	s_or_b64 exec, exec, s[18:19]
	s_and_saveexec_b64 s[18:19], s[14:15]
	s_cbranch_execnz .LBB20_1116
	s_branch .LBB20_1117
.LBB20_1133:
	s_mov_b64 s[14:15], -1
                                        ; implicit-def: $vgpr3
	s_branch .LBB20_1138
.LBB20_1134:
	s_mov_b64 s[14:15], -1
                                        ; implicit-def: $vgpr3
.LBB20_1135:
	s_and_b64 vcc, exec, s[14:15]
	s_cbranch_vccz .LBB20_1137
; %bb.1136:
	global_load_ubyte v3, v[0:1], off
	s_mov_b32 s14, 0x7f800000
	s_waitcnt vmcnt(0)
	v_lshlrev_b32_e32 v3, 24, v3
	v_and_b32_e32 v4, 0x7f000000, v3
	v_ffbh_u32_e32 v5, v4
	v_min_u32_e32 v5, 32, v5
	v_sub_u32_e64 v5, v5, 4 clamp
	v_lshlrev_b32_e32 v7, v5, v4
	v_lshlrev_b32_e32 v5, 23, v5
	v_lshrrev_b32_e32 v7, 4, v7
	v_add_u32_e32 v6, 0x1000000, v4
	v_sub_u32_e32 v5, v7, v5
	v_ashrrev_i32_e32 v6, 8, v6
	v_add_u32_e32 v5, 0x3c000000, v5
	v_and_or_b32 v5, v6, s14, v5
	v_cmp_ne_u32_e32 vcc, 0, v4
	v_cndmask_b32_e32 v4, 0, v5, vcc
	s_brev_b32 s14, 1
	v_and_or_b32 v3, v3, s14, v4
.LBB20_1137:
	s_mov_b64 s[14:15], 0
.LBB20_1138:
	s_andn2_b64 vcc, exec, s[14:15]
	s_cbranch_vccnz .LBB20_1140
; %bb.1139:
	global_load_ubyte v3, v[0:1], off
	s_movk_i32 s14, 0x7f00
	s_brev_b32 s15, 16
	s_waitcnt vmcnt(0)
	v_lshlrev_b16_e32 v4, 8, v3
	v_lshlrev_b32_e32 v3, 25, v3
	v_lshrrev_b32_e32 v5, 4, v3
	v_and_or_b32 v6, v4, s14, 0.5
	v_or_b32_e32 v5, 0x70000000, v5
	v_add_f32_e32 v6, -0.5, v6
	v_mul_f32_e32 v5, 0x7800000, v5
	v_cmp_gt_u32_e32 vcc, s15, v3
	v_bfe_i32 v4, v4, 0, 16
	v_cndmask_b32_e32 v3, v5, v6, vcc
	s_brev_b32 s14, 1
	v_and_or_b32 v3, v4, s14, v3
.LBB20_1140:
	s_mov_b64 s[18:19], -1
	s_mov_b64 s[16:17], 0
	s_cbranch_execnz .LBB20_1151
.LBB20_1141:
	v_cmp_lt_i16_e32 vcc, 14, v9
	s_cbranch_vccz .LBB20_1144
; %bb.1142:
	v_cmp_eq_u16_e32 vcc, 15, v9
	s_cbranch_vccz .LBB20_1147
; %bb.1143:
	global_load_ushort v3, v[0:1], off
	s_mov_b64 s[2:3], 0
	s_mov_b64 s[18:19], -1
	s_waitcnt vmcnt(0)
	v_lshlrev_b32_e32 v3, 16, v3
	s_branch .LBB20_1148
.LBB20_1144:
	s_mov_b64 s[14:15], -1
                                        ; implicit-def: $vgpr3
	s_branch .LBB20_1149
.LBB20_1145:
	s_or_saveexec_b64 s[16:17], s[16:17]
	v_mov_b32_e32 v3, s20
	s_xor_b64 exec, exec, s[16:17]
	s_cbranch_execz .LBB20_1127
.LBB20_1146:
	v_cmp_ne_u16_e32 vcc, 0, v4
	s_andn2_b64 s[14:15], s[14:15], exec
	s_and_b64 s[18:19], vcc, exec
	v_mov_b32_e32 v3, 0
	s_or_b64 s[14:15], s[14:15], s[18:19]
	s_or_b64 exec, exec, s[16:17]
	s_and_saveexec_b64 s[16:17], s[14:15]
	s_cbranch_execnz .LBB20_1128
	s_branch .LBB20_1129
.LBB20_1147:
	s_mov_b64 s[2:3], -1
                                        ; implicit-def: $vgpr3
.LBB20_1148:
	s_mov_b64 s[14:15], 0
.LBB20_1149:
	s_and_b64 vcc, exec, s[14:15]
	s_cbranch_vccz .LBB20_1151
; %bb.1150:
	v_cmp_ne_u16_e64 s[2:3], 11, v9
	s_mov_b64 s[16:17], -1
                                        ; implicit-def: $vgpr3
.LBB20_1151:
	s_and_b64 vcc, exec, s[2:3]
	s_mov_b64 s[14:15], s[6:7]
	s_cbranch_vccnz .LBB20_1224
; %bb.1152:
	s_andn2_b64 vcc, exec, s[16:17]
	s_cbranch_vccnz .LBB20_1154
.LBB20_1153:
	global_load_ubyte v3, v[0:1], off
	s_mov_b64 s[18:19], -1
	s_waitcnt vmcnt(0)
	v_cmp_ne_u16_e32 vcc, 0, v3
	v_cndmask_b32_e64 v3, 0, 1.0, vcc
.LBB20_1154:
	s_branch .LBB20_1084
.LBB20_1155:
	v_cmp_gt_i16_e32 vcc, 5, v9
	s_cbranch_vccnz .LBB20_1160
; %bb.1156:
	v_cmp_gt_i16_e32 vcc, 8, v9
	s_cbranch_vccnz .LBB20_1161
; %bb.1157:
	;; [unrolled: 3-line block ×3, first 2 shown]
	v_cmp_lt_i16_e32 vcc, 9, v9
	s_cbranch_vccz .LBB20_1163
; %bb.1159:
	global_load_dwordx2 v[4:5], v[0:1], off
	s_mov_b64 s[2:3], 0
	s_waitcnt vmcnt(0)
	v_cvt_f32_f64_e32 v3, v[4:5]
	s_branch .LBB20_1164
.LBB20_1160:
                                        ; implicit-def: $vgpr3
	s_branch .LBB20_1181
.LBB20_1161:
                                        ; implicit-def: $vgpr3
	s_branch .LBB20_1170
.LBB20_1162:
	s_mov_b64 s[2:3], -1
                                        ; implicit-def: $vgpr3
	s_branch .LBB20_1167
.LBB20_1163:
	s_mov_b64 s[2:3], -1
                                        ; implicit-def: $vgpr3
.LBB20_1164:
	s_andn2_b64 vcc, exec, s[2:3]
	s_cbranch_vccnz .LBB20_1166
; %bb.1165:
	global_load_dword v3, v[0:1], off
.LBB20_1166:
	s_mov_b64 s[2:3], 0
.LBB20_1167:
	s_andn2_b64 vcc, exec, s[2:3]
	s_cbranch_vccnz .LBB20_1169
; %bb.1168:
	global_load_dword v3, v[0:1], off
	s_waitcnt vmcnt(0)
	v_cvt_f32_f16_e32 v3, v3
.LBB20_1169:
	s_cbranch_execnz .LBB20_1180
.LBB20_1170:
	v_cmp_gt_i16_e32 vcc, 6, v9
	s_cbranch_vccnz .LBB20_1173
; %bb.1171:
	v_cmp_lt_i16_e32 vcc, 6, v9
	s_cbranch_vccz .LBB20_1174
; %bb.1172:
	global_load_dwordx2 v[4:5], v[0:1], off
	s_mov_b64 s[2:3], 0
	s_waitcnt vmcnt(0)
	v_cvt_f32_f64_e32 v3, v[4:5]
	s_branch .LBB20_1175
.LBB20_1173:
	s_mov_b64 s[2:3], -1
                                        ; implicit-def: $vgpr3
	s_branch .LBB20_1178
.LBB20_1174:
	s_mov_b64 s[2:3], -1
                                        ; implicit-def: $vgpr3
.LBB20_1175:
	s_andn2_b64 vcc, exec, s[2:3]
	s_cbranch_vccnz .LBB20_1177
; %bb.1176:
	global_load_dword v3, v[0:1], off
.LBB20_1177:
	s_mov_b64 s[2:3], 0
.LBB20_1178:
	s_andn2_b64 vcc, exec, s[2:3]
	s_cbranch_vccnz .LBB20_1180
; %bb.1179:
	global_load_ushort v3, v[0:1], off
	s_waitcnt vmcnt(0)
	v_cvt_f32_f16_e32 v3, v3
.LBB20_1180:
	s_cbranch_execnz .LBB20_1199
.LBB20_1181:
	v_cmp_gt_i16_e32 vcc, 2, v9
	s_cbranch_vccnz .LBB20_1185
; %bb.1182:
	v_cmp_gt_i16_e32 vcc, 3, v9
	s_cbranch_vccnz .LBB20_1186
; %bb.1183:
	v_cmp_lt_i16_e32 vcc, 3, v9
	s_cbranch_vccz .LBB20_1187
; %bb.1184:
	global_load_dwordx2 v[4:5], v[0:1], off
	s_mov_b64 s[2:3], 0
	s_waitcnt vmcnt(0)
	v_xor_b32_e32 v6, v4, v5
	v_ffbh_i32_e32 v3, v5
	v_ashrrev_i32_e32 v6, 31, v6
	v_add_u32_e32 v3, -1, v3
	v_add_u32_e32 v6, 32, v6
	v_min_u32_e32 v3, v3, v6
	v_lshlrev_b64 v[4:5], v3, v[4:5]
	v_min_u32_e32 v4, 1, v4
	v_or_b32_e32 v4, v5, v4
	v_cvt_f32_i32_e32 v4, v4
	v_sub_u32_e32 v3, 32, v3
	v_ldexp_f32 v3, v4, v3
	s_branch .LBB20_1188
.LBB20_1185:
                                        ; implicit-def: $vgpr3
	s_branch .LBB20_1194
.LBB20_1186:
	s_mov_b64 s[2:3], -1
                                        ; implicit-def: $vgpr3
	s_branch .LBB20_1191
.LBB20_1187:
	s_mov_b64 s[2:3], -1
                                        ; implicit-def: $vgpr3
.LBB20_1188:
	s_andn2_b64 vcc, exec, s[2:3]
	s_cbranch_vccnz .LBB20_1190
; %bb.1189:
	global_load_dword v3, v[0:1], off
	s_waitcnt vmcnt(0)
	v_cvt_f32_i32_e32 v3, v3
.LBB20_1190:
	s_mov_b64 s[2:3], 0
.LBB20_1191:
	s_andn2_b64 vcc, exec, s[2:3]
	s_cbranch_vccnz .LBB20_1193
; %bb.1192:
	global_load_sshort v3, v[0:1], off
	s_waitcnt vmcnt(0)
	v_cvt_f32_i32_e32 v3, v3
.LBB20_1193:
	s_cbranch_execnz .LBB20_1199
.LBB20_1194:
	v_cmp_lt_i16_e32 vcc, 0, v9
	s_cbranch_vccz .LBB20_1196
; %bb.1195:
	global_load_sbyte v3, v[0:1], off
	s_mov_b64 s[2:3], 0
	s_waitcnt vmcnt(0)
	v_cvt_f32_i32_e32 v3, v3
	s_branch .LBB20_1197
.LBB20_1196:
	s_mov_b64 s[2:3], -1
                                        ; implicit-def: $vgpr3
.LBB20_1197:
	s_andn2_b64 vcc, exec, s[2:3]
	s_cbranch_vccnz .LBB20_1199
; %bb.1198:
	global_load_ubyte v0, v[0:1], off
	s_waitcnt vmcnt(0)
	v_cvt_f32_ubyte0_e32 v3, v0
.LBB20_1199:
.LBB20_1200:
	s_waitcnt vmcnt(0)
	v_cmp_neq_f32_e32 vcc, 0, v3
	v_mov_b32_e32 v0, 0x7f800000
	s_and_saveexec_b64 s[16:17], vcc
	s_cbranch_execz .LBB20_1212
; %bb.1201:
	v_cmp_ngt_f32_e32 vcc, 0, v3
	v_mov_b32_e32 v0, 0x7fc00000
	s_and_saveexec_b64 s[18:19], vcc
	s_cbranch_execz .LBB20_1211
; %bb.1202:
	v_cmp_ge_f32_e32 vcc, 2.0, v3
                                        ; implicit-def: $vgpr0
	s_and_saveexec_b64 s[2:3], vcc
	s_xor_b64 s[20:21], exec, s[2:3]
	s_cbranch_execz .LBB20_1208
; %bb.1203:
	s_mov_b32 s2, 0x41000000
	v_mul_f32_e32 v0, 0.5, v3
	v_cmp_ge_f32_e32 vcc, s2, v3
                                        ; implicit-def: $vgpr4
                                        ; implicit-def: $vgpr1
	s_and_saveexec_b64 s[2:3], vcc
	s_xor_b64 s[2:3], exec, s[2:3]
	s_cbranch_execz .LBB20_1205
; %bb.1204:
	v_add_f32_e32 v1, -2.0, v0
	v_mov_b32_e32 v4, 0x24199b15
	v_fmac_f32_e32 v4, 0xa2a2e5b9, v1
	v_mov_b32_e32 v5, 0x22a2e5b9
	v_fmac_f32_e32 v5, v1, v4
	v_add_f32_e32 v5, 0xa58c275c, v5
	v_fma_f32 v4, v1, v5, -v4
	v_add_f32_e32 v4, 0x26f736c5, v4
	v_fma_f32 v5, v1, v4, -v5
	;; [unrolled: 2-line block ×23, first 2 shown]
	v_mul_f32_e32 v6, 0x3fb8aa3b, v3
	v_add_f32_e32 v4, 0x3d49f456, v4
	s_mov_b32 s22, 0x3fb8aa3b
	v_rndne_f32_e32 v7, v6
	v_fma_f32 v5, v1, v4, -v5
	v_sub_f32_e32 v11, v6, v7
	v_fma_f32 v6, v3, s22, -v6
	v_add_f32_e32 v5, 0xbdc25b82, v5
	v_fmac_f32_e32 v6, 0x32a5705f, v3
	v_fma_f32 v4, v1, v5, -v4
	v_add_f32_e32 v6, v11, v6
	v_add_f32_e32 v4, 0x3e2fbd64, v4
	v_exp_f32_e32 v6, v6
	v_cvt_i32_f32_e32 v7, v7
	v_fma_f32 v5, v1, v4, -v5
	v_add_f32_e32 v5, 0xbe9bff5e, v5
	v_fma_f32 v1, v1, v5, -v4
	s_mov_b32 s22, 0xc2ce8ed0
	v_add_f32_e32 v5, 0x3f2d4275, v1
	v_ldexp_f32 v1, v6, v7
	v_cmp_ngt_f32_e32 vcc, s22, v3
	s_mov_b32 s22, 0x42b17218
	v_cndmask_b32_e32 v1, 0, v1, vcc
	v_mov_b32_e32 v6, 0x7f800000
	v_cmp_nlt_f32_e32 vcc, s22, v3
	v_sub_f32_e32 v4, v5, v4
	v_cndmask_b32_e32 v1, v6, v1, vcc
	v_mul_f32_e32 v4, 0.5, v4
	v_mul_f32_e32 v4, v1, v4
.LBB20_1205:
	s_andn2_saveexec_b64 s[22:23], s[2:3]
	s_cbranch_execz .LBB20_1207
; %bb.1206:
	s_mov_b32 s24, 0x42000000
	v_div_scale_f32 v1, s[2:3], v3, v3, s24
	v_rcp_f32_e32 v4, v1
	v_div_scale_f32 v5, vcc, s24, v3, s24
	s_mov_b32 s2, 0x3fb8aa3b
	v_fma_f32 v6, -v1, v4, 1.0
	v_fmac_f32_e32 v4, v6, v4
	v_mul_f32_e32 v6, v5, v4
	v_fma_f32 v7, -v1, v6, v5
	v_fmac_f32_e32 v6, v7, v4
	v_fma_f32 v1, -v1, v6, v5
	v_div_fmas_f32 v1, v1, v4, v6
	v_div_fixup_f32 v1, v1, v3, s24
	v_add_f32_e32 v1, -2.0, v1
	v_mov_b32_e32 v4, 0xa2b236d3
	v_fmac_f32_e32 v4, 0xa3056dbb, v1
	v_mov_b32_e32 v5, 0x23056dbb
	v_fmac_f32_e32 v5, v1, v4
	v_add_f32_e32 v5, 0x244df0c1, v5
	v_fma_f32 v4, v1, v5, -v4
	v_add_f32_e32 v4, 0x241f9ee8, v4
	v_fma_f32 v5, v1, v4, -v5
	;; [unrolled: 2-line block ×18, first 2 shown]
	v_mul_f32_e32 v6, 0x3fb8aa3b, v3
	v_add_f32_e32 v5, 0x345c003f, v5
	v_rndne_f32_e32 v7, v6
	v_fma_f32 v4, v1, v5, -v4
	v_sub_f32_e32 v11, v6, v7
	v_fma_f32 v6, v3, s2, -v6
	v_add_f32_e32 v4, 0x3642095e, v4
	v_fmac_f32_e32 v6, 0x32a5705f, v3
	v_fma_f32 v5, v1, v4, -v5
	v_add_f32_e32 v6, v11, v6
	v_add_f32_e32 v5, 0x38907d1c, v5
	v_exp_f32_e32 v6, v6
	v_cvt_i32_f32_e32 v7, v7
	v_fma_f32 v4, v1, v5, -v4
	v_add_f32_e32 v4, 0x3b5ccc65, v4
	v_fma_f32 v1, v1, v4, -v5
	s_mov_b32 s2, 0xc2ce8ed0
	v_add_f32_e32 v4, 0x3f4df315, v1
	v_ldexp_f32 v1, v6, v7
	v_cmp_ngt_f32_e32 vcc, s2, v3
	s_mov_b32 s2, 0x42b17218
	v_cndmask_b32_e32 v1, 0, v1, vcc
	v_mov_b32_e32 v6, 0x7f800000
	v_cmp_nlt_f32_e32 vcc, s2, v3
	s_mov_b32 s2, 0xf800000
	v_cndmask_b32_e32 v1, v6, v1, vcc
	v_mul_f32_e32 v6, 0x4f800000, v3
	v_cmp_gt_f32_e32 vcc, s2, v3
	v_cndmask_b32_e32 v6, v3, v6, vcc
	v_sqrt_f32_e32 v7, v6
	v_sub_f32_e32 v4, v4, v5
	v_mul_f32_e32 v4, 0.5, v4
	v_mul_f32_e32 v4, v1, v4
	v_add_u32_e32 v5, -1, v7
	v_fma_f32 v11, -v5, v7, v6
	v_cmp_ge_f32_e64 s[2:3], 0, v11
	v_add_u32_e32 v11, 1, v7
	v_cndmask_b32_e64 v5, v7, v5, s[2:3]
	v_fma_f32 v7, -v11, v7, v6
	v_cmp_lt_f32_e64 s[2:3], 0, v7
	v_cndmask_b32_e64 v5, v5, v11, s[2:3]
	v_mul_f32_e32 v7, 0x37800000, v5
	v_cndmask_b32_e32 v5, v5, v7, vcc
	v_mov_b32_e32 v7, 0x260
	v_cmp_class_f32_e32 vcc, v6, v7
	v_cndmask_b32_e32 v5, v5, v6, vcc
	v_div_scale_f32 v6, s[2:3], v5, v5, v4
	v_rcp_f32_e32 v7, v6
	v_fma_f32 v11, -v6, v7, 1.0
	v_fmac_f32_e32 v7, v11, v7
	v_div_scale_f32 v11, vcc, v4, v5, v4
	v_mul_f32_e32 v12, v11, v7
	v_fma_f32 v13, -v6, v12, v11
	v_fmac_f32_e32 v12, v13, v7
	v_fma_f32 v6, -v6, v12, v11
	v_div_fmas_f32 v6, v6, v7, v12
	v_div_fixup_f32 v4, v6, v5, v4
.LBB20_1207:
	s_or_b64 exec, exec, s[22:23]
	v_fma_f32 v3, v3, v3, -2.0
	v_mov_b32_e32 v5, 0x293fd856
	v_fmac_f32_e32 v5, 0x251e770f, v3
	v_mov_b32_e32 v6, 0xa51e770f
	v_fmac_f32_e32 v6, v3, v5
	v_add_f32_e32 v6, 0x2d3612e2, v6
	v_fma_f32 v5, v3, v6, -v5
	v_add_f32_e32 v5, 0x3102e09b, v5
	v_fma_f32 v6, v3, v5, -v6
	;; [unrolled: 2-line block ×6, first 2 shown]
	v_add_f32_e32 v6, 0x3eb046c4, v6
	s_mov_b32 s2, 0x800000
	v_fma_f32 v3, v3, v6, -v5
	v_mov_b32_e32 v6, 0x4f800000
	v_cmp_gt_f32_e32 vcc, s2, v0
	v_cndmask_b32_e32 v6, 1.0, v6, vcc
	v_mul_f32_e32 v0, v0, v6
	v_log_f32_e32 v0, v0
	v_add_f32_e32 v3, 0xbf090b37, v3
	v_sub_f32_e32 v3, v3, v5
	s_mov_b32 s2, 0x3f317217
	v_mul_f32_e32 v5, 0x3f317217, v0
	v_fma_f32 v6, v0, s2, -v5
	v_fmac_f32_e32 v6, 0x3377d1cf, v0
	s_mov_b32 s2, 0x7f800000
	v_add_f32_e32 v5, v5, v6
	v_cmp_lt_f32_e64 s[2:3], |v0|, s2
	v_cndmask_b32_e64 v0, v0, v5, s[2:3]
	v_mov_b32_e32 v5, 0x41b17218
	v_cndmask_b32_e32 v5, 0, v5, vcc
	v_sub_f32_e32 v0, v0, v5
	v_mul_f32_e32 v0, v0, v4
	v_fma_f32 v0, v3, 0.5, -v0
	v_mul_f32_e32 v0, v1, v0
                                        ; implicit-def: $vgpr3
.LBB20_1208:
	s_andn2_saveexec_b64 s[20:21], s[20:21]
	s_cbranch_execz .LBB20_1210
; %bb.1209:
	s_mov_b32 s22, 0x41000000
	v_div_scale_f32 v0, s[2:3], v3, v3, s22
	v_rcp_f32_e32 v1, v0
	v_div_scale_f32 v4, vcc, s22, v3, s22
	s_mov_b32 s2, 0xf800000
	v_fma_f32 v5, -v0, v1, 1.0
	v_fmac_f32_e32 v1, v5, v1
	v_mul_f32_e32 v5, v4, v1
	v_fma_f32 v6, -v0, v5, v4
	v_fmac_f32_e32 v5, v6, v1
	v_fma_f32 v0, -v0, v5, v4
	v_div_fmas_f32 v0, v0, v1, v5
	v_div_fixup_f32 v0, v0, v3, s22
	v_add_f32_e32 v0, -2.0, v0
	v_mov_b32_e32 v1, 0xa397f665
	v_fmac_f32_e32 v1, 0x22c38d2e, v0
	v_mov_b32_e32 v4, 0xa2c38d2e
	v_fmac_f32_e32 v4, v0, v1
	v_add_f32_e32 v4, 0x24704972, v4
	v_fma_f32 v1, v0, v4, -v1
	v_add_f32_e32 v1, 0xa5417ca4, v1
	v_fma_f32 v4, v0, v1, -v4
	;; [unrolled: 2-line block ×22, first 2 shown]
	v_mul_f32_e32 v1, 0x4f800000, v3
	v_cmp_gt_f32_e32 vcc, s2, v3
	v_cndmask_b32_e32 v1, v3, v1, vcc
	v_sqrt_f32_e32 v3, v1
	v_add_f32_e32 v0, 0x401c2ded, v0
	v_sub_f32_e32 v0, v0, v4
	v_mul_f32_e32 v0, 0.5, v0
	v_add_u32_e32 v4, -1, v3
	v_fma_f32 v5, -v4, v3, v1
	v_cmp_ge_f32_e64 s[2:3], 0, v5
	v_add_u32_e32 v5, 1, v3
	v_cndmask_b32_e64 v4, v3, v4, s[2:3]
	v_fma_f32 v3, -v5, v3, v1
	v_cmp_lt_f32_e64 s[2:3], 0, v3
	v_cndmask_b32_e64 v3, v4, v5, s[2:3]
	v_mul_f32_e32 v4, 0x37800000, v3
	v_cndmask_b32_e32 v3, v3, v4, vcc
	v_mov_b32_e32 v4, 0x260
	v_cmp_class_f32_e32 vcc, v1, v4
	v_cndmask_b32_e32 v1, v3, v1, vcc
	v_div_scale_f32 v3, s[2:3], v1, v1, v0
	v_rcp_f32_e32 v4, v3
	v_fma_f32 v5, -v3, v4, 1.0
	v_fmac_f32_e32 v4, v5, v4
	v_div_scale_f32 v5, vcc, v0, v1, v0
	v_mul_f32_e32 v6, v5, v4
	v_fma_f32 v7, -v3, v6, v5
	v_fmac_f32_e32 v6, v7, v4
	v_fma_f32 v3, -v3, v6, v5
	v_div_fmas_f32 v3, v3, v4, v6
	v_div_fixup_f32 v0, v3, v1, v0
.LBB20_1210:
	s_or_b64 exec, exec, s[20:21]
.LBB20_1211:
	s_or_b64 exec, exec, s[18:19]
.LBB20_1212:
	s_or_b64 exec, exec, s[16:17]
	s_lshl_b32 s13, s13, 7
	v_add_u32_e32 v1, s13, v2
	v_ashrrev_i32_e32 v3, 31, v1
	v_mov_b32_e32 v4, s11
	v_add_co_u32_e32 v2, vcc, s10, v1
	v_addc_co_u32_e32 v3, vcc, v4, v3, vcc
	s_and_b64 vcc, exec, s[0:1]
	s_cbranch_vccnz .LBB20_1219
; %bb.1213:
	v_cmp_lt_i16_e32 vcc, 25, v9
	s_mov_b64 s[16:17], 0
	s_cbranch_vccz .LBB20_1221
; %bb.1214:
	v_cmp_lt_i16_e32 vcc, 28, v9
	s_cbranch_vccz .LBB20_1222
; %bb.1215:
	v_cmp_lt_i16_e32 vcc, 43, v9
	;; [unrolled: 3-line block ×3, first 2 shown]
	s_cbranch_vccz .LBB20_1225
; %bb.1217:
	v_cmp_eq_u16_e32 vcc, 46, v9
	s_mov_b64 s[20:21], 0
	s_cbranch_vccz .LBB20_1228
; %bb.1218:
	global_load_dword v4, v[2:3], off
	s_mov_b64 s[2:3], 0
	s_mov_b64 s[18:19], -1
	s_waitcnt vmcnt(0)
	v_lshlrev_b32_e32 v4, 16, v4
	s_branch .LBB20_1229
.LBB20_1219:
	s_mov_b64 s[18:19], 0
                                        ; implicit-def: $vgpr4
	s_cbranch_execnz .LBB20_1294
.LBB20_1220:
	s_andn2_b64 vcc, exec, s[18:19]
	s_cbranch_vccnz .LBB20_1643
	s_branch .LBB20_1341
.LBB20_1221:
	s_mov_b64 s[18:19], 0
	s_mov_b64 s[2:3], 0
                                        ; implicit-def: $vgpr4
	s_cbranch_execnz .LBB20_1258
	s_branch .LBB20_1290
.LBB20_1222:
	s_mov_b64 s[20:21], -1
	s_mov_b64 s[18:19], 0
	s_mov_b64 s[2:3], 0
                                        ; implicit-def: $vgpr4
	s_branch .LBB20_1239
.LBB20_1223:
	s_mov_b64 s[20:21], -1
	s_mov_b64 s[18:19], 0
	s_mov_b64 s[2:3], 0
                                        ; implicit-def: $vgpr4
	s_branch .LBB20_1234
.LBB20_1224:
	s_or_b64 s[14:15], s[6:7], exec
	s_trap 2
                                        ; implicit-def: $vgpr3
	s_cbranch_execz .LBB20_1153
	s_branch .LBB20_1154
.LBB20_1225:
	s_mov_b64 s[20:21], -1
	s_mov_b64 s[18:19], 0
	s_mov_b64 s[2:3], 0
                                        ; implicit-def: $vgpr4
	s_branch .LBB20_1229
.LBB20_1226:
	s_or_saveexec_b64 s[24:25], s[24:25]
                                        ; implicit-def: $sgpr26
	s_xor_b64 exec, exec, s[24:25]
	s_cbranch_execz .LBB20_1000
.LBB20_1227:
	s_mov_b32 s26, 0x42800000
	v_add_f32_e64 v1, |v0|, s26
	v_and_b32_e32 v1, 0xff, v1
	v_cmp_ne_u32_e32 vcc, 0, v1
	s_andn2_b64 s[22:23], s[22:23], exec
	s_and_b64 s[28:29], vcc, exec
	s_mov_b32 s26, 0
	s_or_b64 s[22:23], s[22:23], s[28:29]
	s_or_b64 exec, exec, s[24:25]
	v_mov_b32_e32 v4, s26
	s_and_saveexec_b64 s[24:25], s[22:23]
	s_cbranch_execnz .LBB20_1001
	s_branch .LBB20_1002
.LBB20_1228:
	s_mov_b64 s[2:3], -1
                                        ; implicit-def: $vgpr4
	s_mov_b64 s[18:19], 0
.LBB20_1229:
	s_and_b64 vcc, exec, s[20:21]
	s_cbranch_vccz .LBB20_1233
; %bb.1230:
	v_cmp_eq_u16_e32 vcc, 44, v9
	s_cbranch_vccz .LBB20_1232
; %bb.1231:
	global_load_ubyte v4, v[2:3], off
	s_movk_i32 s18, 0xff
	v_mov_b32_e32 v5, 0x7f800001
	v_mov_b32_e32 v6, 0x400000
	s_mov_b64 s[2:3], 0
	s_waitcnt vmcnt(0)
	v_lshlrev_b32_e32 v7, 23, v4
	v_cmp_ne_u32_e32 vcc, s18, v4
	v_cndmask_b32_e32 v5, v5, v7, vcc
	v_cmp_ne_u32_e32 vcc, 0, v4
	v_cndmask_b32_e32 v4, v6, v5, vcc
	s_mov_b64 s[18:19], -1
	s_branch .LBB20_1233
.LBB20_1232:
	s_mov_b64 s[2:3], -1
                                        ; implicit-def: $vgpr4
.LBB20_1233:
	s_mov_b64 s[20:21], 0
.LBB20_1234:
	s_and_b64 vcc, exec, s[20:21]
	s_cbranch_vccz .LBB20_1238
; %bb.1235:
	v_cmp_eq_u16_e32 vcc, 29, v9
	s_cbranch_vccz .LBB20_1237
; %bb.1236:
	global_load_dwordx2 v[4:5], v[2:3], off
	s_mov_b64 s[2:3], 0
	s_mov_b64 s[18:19], -1
	s_mov_b64 s[20:21], 0
	s_waitcnt vmcnt(0)
	v_ffbh_u32_e32 v6, v5
	v_min_u32_e32 v6, 32, v6
	v_lshlrev_b64 v[4:5], v6, v[4:5]
	v_min_u32_e32 v4, 1, v4
	v_or_b32_e32 v4, v5, v4
	v_cvt_f32_u32_e32 v4, v4
	v_sub_u32_e32 v5, 32, v6
	v_ldexp_f32 v4, v4, v5
	s_branch .LBB20_1239
.LBB20_1237:
	s_mov_b64 s[2:3], -1
                                        ; implicit-def: $vgpr4
.LBB20_1238:
	s_mov_b64 s[20:21], 0
.LBB20_1239:
	s_and_b64 vcc, exec, s[20:21]
	s_cbranch_vccz .LBB20_1257
; %bb.1240:
	v_cmp_gt_i16_e32 vcc, 27, v9
	s_cbranch_vccnz .LBB20_1243
; %bb.1241:
	v_cmp_lt_i16_e32 vcc, 27, v9
	s_cbranch_vccz .LBB20_1244
; %bb.1242:
	global_load_dword v4, v[2:3], off
	s_mov_b64 s[18:19], 0
	s_waitcnt vmcnt(0)
	v_cvt_f32_u32_e32 v4, v4
	s_branch .LBB20_1245
.LBB20_1243:
	s_mov_b64 s[18:19], -1
                                        ; implicit-def: $vgpr4
	s_branch .LBB20_1248
.LBB20_1244:
	s_mov_b64 s[18:19], -1
                                        ; implicit-def: $vgpr4
.LBB20_1245:
	s_andn2_b64 vcc, exec, s[18:19]
	s_cbranch_vccnz .LBB20_1247
; %bb.1246:
	global_load_ushort v4, v[2:3], off
	s_waitcnt vmcnt(0)
	v_cvt_f32_u32_e32 v4, v4
.LBB20_1247:
	s_mov_b64 s[18:19], 0
.LBB20_1248:
	s_andn2_b64 vcc, exec, s[18:19]
	s_cbranch_vccnz .LBB20_1256
; %bb.1249:
	global_load_ubyte v5, v[2:3], off
	s_movk_i32 s18, 0x7f
                                        ; implicit-def: $sgpr24
	s_waitcnt vmcnt(0)
	v_cmp_lt_i16_e32 vcc, s18, v5
	s_mov_b64 s[18:19], 0
	s_and_saveexec_b64 s[20:21], vcc
	s_xor_b64 s[20:21], exec, s[20:21]
	s_cbranch_execz .LBB20_1269
; %bb.1250:
	s_movk_i32 s18, 0x80
	v_cmp_eq_u16_e32 vcc, s18, v5
	s_mov_b64 s[18:19], -1
                                        ; implicit-def: $sgpr24
	s_and_saveexec_b64 s[22:23], vcc
; %bb.1251:
	s_mov_b32 s24, 0x7f800001
	s_xor_b64 s[18:19], exec, -1
; %bb.1252:
	s_or_b64 exec, exec, s[22:23]
	s_and_b64 s[18:19], s[18:19], exec
	s_or_saveexec_b64 s[20:21], s[20:21]
	v_mov_b32_e32 v4, s24
	s_xor_b64 exec, exec, s[20:21]
	s_cbranch_execnz .LBB20_1270
.LBB20_1253:
	s_or_b64 exec, exec, s[20:21]
	s_and_saveexec_b64 s[20:21], s[18:19]
	s_cbranch_execz .LBB20_1255
.LBB20_1254:
	v_lshlrev_b32_e32 v4, 24, v5
	v_and_b32_e32 v5, 0xffff, v5
	v_and_b32_e32 v6, 7, v5
	v_ffbh_u32_e32 v11, v6
	v_min_u32_e32 v11, 32, v11
	v_subrev_u32_e32 v12, 28, v11
	v_bfe_u32 v7, v5, 3, 4
	v_lshlrev_b32_e32 v5, v12, v5
	v_sub_u32_e32 v11, 29, v11
	v_and_b32_e32 v5, 7, v5
	v_cmp_eq_u32_e32 vcc, 0, v7
	v_cndmask_b32_e32 v7, v7, v11, vcc
	v_cndmask_b32_e32 v5, v6, v5, vcc
	v_mov_b32_e32 v6, 0x3b800000
	v_lshlrev_b32_e32 v5, 20, v5
	v_and_b32_e32 v4, 0x80000000, v4
	v_lshl_add_u32 v6, v7, 23, v6
	v_or3_b32 v4, v4, v6, v5
.LBB20_1255:
	s_or_b64 exec, exec, s[20:21]
.LBB20_1256:
	s_mov_b64 s[18:19], -1
.LBB20_1257:
	s_branch .LBB20_1290
.LBB20_1258:
	v_cmp_lt_i16_e32 vcc, 22, v9
	s_cbranch_vccz .LBB20_1268
; %bb.1259:
	v_cmp_gt_i16_e32 vcc, 24, v9
	s_cbranch_vccnz .LBB20_1271
; %bb.1260:
	v_cmp_lt_i16_e32 vcc, 24, v9
	s_cbranch_vccz .LBB20_1272
; %bb.1261:
	global_load_ubyte v5, v[2:3], off
	s_movk_i32 s16, 0x7f
                                        ; implicit-def: $sgpr22
	s_waitcnt vmcnt(0)
	v_cmp_lt_i16_e32 vcc, s16, v5
	s_mov_b64 s[16:17], 0
	s_and_saveexec_b64 s[18:19], vcc
	s_xor_b64 s[18:19], exec, s[18:19]
	s_cbranch_execz .LBB20_1284
; %bb.1262:
	s_movk_i32 s16, 0x80
	v_cmp_eq_u16_e32 vcc, s16, v5
	s_mov_b64 s[16:17], -1
                                        ; implicit-def: $sgpr22
	s_and_saveexec_b64 s[20:21], vcc
; %bb.1263:
	s_mov_b32 s22, 0x7f800001
	s_xor_b64 s[16:17], exec, -1
; %bb.1264:
	s_or_b64 exec, exec, s[20:21]
	s_and_b64 s[16:17], s[16:17], exec
	s_or_saveexec_b64 s[18:19], s[18:19]
	v_mov_b32_e32 v4, s22
	s_xor_b64 exec, exec, s[18:19]
	s_cbranch_execnz .LBB20_1285
.LBB20_1265:
	s_or_b64 exec, exec, s[18:19]
	s_and_saveexec_b64 s[18:19], s[16:17]
	s_cbranch_execz .LBB20_1267
.LBB20_1266:
	v_lshlrev_b32_e32 v4, 24, v5
	v_and_b32_e32 v5, 0xffff, v5
	v_and_b32_e32 v6, 3, v5
	v_ffbh_u32_e32 v11, v6
	v_min_u32_e32 v11, 32, v11
	v_subrev_u32_e32 v12, 29, v11
	v_bfe_u32 v7, v5, 2, 5
	v_lshlrev_b32_e32 v5, v12, v5
	v_sub_u32_e32 v11, 30, v11
	v_and_b32_e32 v5, 3, v5
	v_cmp_eq_u32_e32 vcc, 0, v7
	v_cndmask_b32_e32 v7, v7, v11, vcc
	v_cndmask_b32_e32 v5, v6, v5, vcc
	v_mov_b32_e32 v6, 0x37800000
	v_lshlrev_b32_e32 v5, 21, v5
	v_and_b32_e32 v4, 0x80000000, v4
	v_lshl_add_u32 v6, v7, 23, v6
	v_or3_b32 v4, v4, v6, v5
.LBB20_1267:
	s_or_b64 exec, exec, s[18:19]
	s_mov_b64 s[16:17], 0
	s_branch .LBB20_1273
.LBB20_1268:
	s_mov_b64 s[16:17], -1
                                        ; implicit-def: $vgpr4
	s_branch .LBB20_1279
.LBB20_1269:
	s_or_saveexec_b64 s[20:21], s[20:21]
	v_mov_b32_e32 v4, s24
	s_xor_b64 exec, exec, s[20:21]
	s_cbranch_execz .LBB20_1253
.LBB20_1270:
	v_cmp_ne_u16_e32 vcc, 0, v5
	s_andn2_b64 s[18:19], s[18:19], exec
	s_and_b64 s[22:23], vcc, exec
	v_mov_b32_e32 v4, 0
	s_or_b64 s[18:19], s[18:19], s[22:23]
	s_or_b64 exec, exec, s[20:21]
	s_and_saveexec_b64 s[20:21], s[18:19]
	s_cbranch_execnz .LBB20_1254
	s_branch .LBB20_1255
.LBB20_1271:
	s_mov_b64 s[16:17], -1
                                        ; implicit-def: $vgpr4
	s_branch .LBB20_1276
.LBB20_1272:
	s_mov_b64 s[16:17], -1
                                        ; implicit-def: $vgpr4
.LBB20_1273:
	s_and_b64 vcc, exec, s[16:17]
	s_cbranch_vccz .LBB20_1275
; %bb.1274:
	global_load_ubyte v4, v[2:3], off
	s_mov_b32 s16, 0x7f800000
	s_waitcnt vmcnt(0)
	v_lshlrev_b32_e32 v4, 24, v4
	v_and_b32_e32 v5, 0x7f000000, v4
	v_ffbh_u32_e32 v6, v5
	v_min_u32_e32 v6, 32, v6
	v_sub_u32_e64 v6, v6, 4 clamp
	v_lshlrev_b32_e32 v11, v6, v5
	v_lshlrev_b32_e32 v6, 23, v6
	v_lshrrev_b32_e32 v11, 4, v11
	v_add_u32_e32 v7, 0x1000000, v5
	v_sub_u32_e32 v6, v11, v6
	v_ashrrev_i32_e32 v7, 8, v7
	v_add_u32_e32 v6, 0x3c000000, v6
	v_and_or_b32 v6, v7, s16, v6
	v_cmp_ne_u32_e32 vcc, 0, v5
	v_cndmask_b32_e32 v5, 0, v6, vcc
	s_brev_b32 s16, 1
	v_and_or_b32 v4, v4, s16, v5
.LBB20_1275:
	s_mov_b64 s[16:17], 0
.LBB20_1276:
	s_andn2_b64 vcc, exec, s[16:17]
	s_cbranch_vccnz .LBB20_1278
; %bb.1277:
	global_load_ubyte v4, v[2:3], off
	s_movk_i32 s16, 0x7f00
	s_brev_b32 s17, 16
	s_waitcnt vmcnt(0)
	v_lshlrev_b16_e32 v5, 8, v4
	v_lshlrev_b32_e32 v4, 25, v4
	v_lshrrev_b32_e32 v6, 4, v4
	v_and_or_b32 v7, v5, s16, 0.5
	v_or_b32_e32 v6, 0x70000000, v6
	v_add_f32_e32 v7, -0.5, v7
	v_mul_f32_e32 v6, 0x7800000, v6
	v_cmp_gt_u32_e32 vcc, s17, v4
	v_bfe_i32 v5, v5, 0, 16
	v_cndmask_b32_e32 v4, v6, v7, vcc
	s_brev_b32 s16, 1
	v_and_or_b32 v4, v5, s16, v4
.LBB20_1278:
	s_mov_b64 s[16:17], 0
	s_mov_b64 s[18:19], -1
.LBB20_1279:
	s_andn2_b64 vcc, exec, s[16:17]
	s_mov_b64 s[16:17], 0
	s_cbranch_vccnz .LBB20_1290
; %bb.1280:
	v_cmp_lt_i16_e32 vcc, 14, v9
	s_cbranch_vccz .LBB20_1283
; %bb.1281:
	v_cmp_eq_u16_e32 vcc, 15, v9
	s_cbranch_vccz .LBB20_1286
; %bb.1282:
	global_load_ushort v4, v[2:3], off
	s_mov_b64 s[2:3], 0
	s_mov_b64 s[18:19], -1
	s_waitcnt vmcnt(0)
	v_lshlrev_b32_e32 v4, 16, v4
	s_branch .LBB20_1287
.LBB20_1283:
	s_mov_b64 s[20:21], -1
                                        ; implicit-def: $vgpr4
	s_branch .LBB20_1288
.LBB20_1284:
	s_or_saveexec_b64 s[18:19], s[18:19]
	v_mov_b32_e32 v4, s22
	s_xor_b64 exec, exec, s[18:19]
	s_cbranch_execz .LBB20_1265
.LBB20_1285:
	v_cmp_ne_u16_e32 vcc, 0, v5
	s_andn2_b64 s[16:17], s[16:17], exec
	s_and_b64 s[20:21], vcc, exec
	v_mov_b32_e32 v4, 0
	s_or_b64 s[16:17], s[16:17], s[20:21]
	s_or_b64 exec, exec, s[18:19]
	s_and_saveexec_b64 s[18:19], s[16:17]
	s_cbranch_execnz .LBB20_1266
	s_branch .LBB20_1267
.LBB20_1286:
	s_mov_b64 s[2:3], -1
                                        ; implicit-def: $vgpr4
.LBB20_1287:
	s_mov_b64 s[20:21], 0
.LBB20_1288:
	s_and_b64 vcc, exec, s[20:21]
	s_cbranch_vccz .LBB20_1290
; %bb.1289:
	v_cmp_ne_u16_e64 s[2:3], 11, v9
	s_mov_b64 s[16:17], -1
                                        ; implicit-def: $vgpr4
.LBB20_1290:
	s_and_b64 vcc, exec, s[2:3]
	s_cbranch_vccnz .LBB20_1365
; %bb.1291:
	s_andn2_b64 vcc, exec, s[16:17]
	s_cbranch_vccnz .LBB20_1293
.LBB20_1292:
	global_load_ubyte v4, v[2:3], off
	s_mov_b64 s[18:19], -1
	s_waitcnt vmcnt(0)
	v_cmp_ne_u16_e32 vcc, 0, v4
	v_cndmask_b32_e64 v4, 0, 1.0, vcc
.LBB20_1293:
	s_branch .LBB20_1220
.LBB20_1294:
	v_cmp_gt_i16_e32 vcc, 5, v9
	s_cbranch_vccnz .LBB20_1299
; %bb.1295:
	v_cmp_gt_i16_e32 vcc, 8, v9
	s_cbranch_vccnz .LBB20_1300
; %bb.1296:
	;; [unrolled: 3-line block ×3, first 2 shown]
	v_cmp_lt_i16_e32 vcc, 9, v9
	s_cbranch_vccz .LBB20_1302
; %bb.1298:
	global_load_dwordx2 v[4:5], v[2:3], off
	s_mov_b64 s[2:3], 0
	s_waitcnt vmcnt(0)
	v_cvt_f32_f64_e32 v4, v[4:5]
	s_branch .LBB20_1303
.LBB20_1299:
                                        ; implicit-def: $vgpr4
	s_branch .LBB20_1321
.LBB20_1300:
	s_mov_b64 s[2:3], -1
                                        ; implicit-def: $vgpr4
	s_branch .LBB20_1309
.LBB20_1301:
	s_mov_b64 s[2:3], -1
                                        ; implicit-def: $vgpr4
	s_branch .LBB20_1306
.LBB20_1302:
	s_mov_b64 s[2:3], -1
                                        ; implicit-def: $vgpr4
.LBB20_1303:
	s_andn2_b64 vcc, exec, s[2:3]
	s_cbranch_vccnz .LBB20_1305
; %bb.1304:
	global_load_dword v4, v[2:3], off
.LBB20_1305:
	s_mov_b64 s[2:3], 0
.LBB20_1306:
	s_andn2_b64 vcc, exec, s[2:3]
	s_cbranch_vccnz .LBB20_1308
; %bb.1307:
	global_load_dword v4, v[2:3], off
	s_waitcnt vmcnt(0)
	v_cvt_f32_f16_e32 v4, v4
.LBB20_1308:
	s_mov_b64 s[2:3], 0
.LBB20_1309:
	s_andn2_b64 vcc, exec, s[2:3]
	s_cbranch_vccnz .LBB20_1320
; %bb.1310:
	v_cmp_gt_i16_e32 vcc, 6, v9
	s_cbranch_vccnz .LBB20_1313
; %bb.1311:
	v_cmp_lt_i16_e32 vcc, 6, v9
	s_cbranch_vccz .LBB20_1314
; %bb.1312:
	global_load_dwordx2 v[4:5], v[2:3], off
	s_mov_b64 s[2:3], 0
	s_waitcnt vmcnt(0)
	v_cvt_f32_f64_e32 v4, v[4:5]
	s_branch .LBB20_1315
.LBB20_1313:
	s_mov_b64 s[2:3], -1
                                        ; implicit-def: $vgpr4
	s_branch .LBB20_1318
.LBB20_1314:
	s_mov_b64 s[2:3], -1
                                        ; implicit-def: $vgpr4
.LBB20_1315:
	s_andn2_b64 vcc, exec, s[2:3]
	s_cbranch_vccnz .LBB20_1317
; %bb.1316:
	global_load_dword v4, v[2:3], off
.LBB20_1317:
	s_mov_b64 s[2:3], 0
.LBB20_1318:
	s_andn2_b64 vcc, exec, s[2:3]
	s_cbranch_vccnz .LBB20_1320
; %bb.1319:
	global_load_ushort v4, v[2:3], off
	s_waitcnt vmcnt(0)
	v_cvt_f32_f16_e32 v4, v4
.LBB20_1320:
	s_cbranch_execnz .LBB20_1340
.LBB20_1321:
	v_cmp_gt_i16_e32 vcc, 2, v9
	s_cbranch_vccnz .LBB20_1325
; %bb.1322:
	v_cmp_gt_i16_e32 vcc, 3, v9
	s_cbranch_vccnz .LBB20_1326
; %bb.1323:
	v_cmp_lt_i16_e32 vcc, 3, v9
	s_cbranch_vccz .LBB20_1327
; %bb.1324:
	global_load_dwordx2 v[4:5], v[2:3], off
	s_mov_b64 s[2:3], 0
	s_waitcnt vmcnt(0)
	v_xor_b32_e32 v7, v4, v5
	v_ffbh_i32_e32 v6, v5
	v_ashrrev_i32_e32 v7, 31, v7
	v_add_u32_e32 v6, -1, v6
	v_add_u32_e32 v7, 32, v7
	v_min_u32_e32 v6, v6, v7
	v_lshlrev_b64 v[4:5], v6, v[4:5]
	v_min_u32_e32 v4, 1, v4
	v_or_b32_e32 v4, v5, v4
	v_cvt_f32_i32_e32 v4, v4
	v_sub_u32_e32 v5, 32, v6
	v_ldexp_f32 v4, v4, v5
	s_branch .LBB20_1328
.LBB20_1325:
	s_mov_b64 s[2:3], -1
                                        ; implicit-def: $vgpr4
	s_branch .LBB20_1334
.LBB20_1326:
	s_mov_b64 s[2:3], -1
                                        ; implicit-def: $vgpr4
	s_branch .LBB20_1331
.LBB20_1327:
	s_mov_b64 s[2:3], -1
                                        ; implicit-def: $vgpr4
.LBB20_1328:
	s_andn2_b64 vcc, exec, s[2:3]
	s_cbranch_vccnz .LBB20_1330
; %bb.1329:
	global_load_dword v4, v[2:3], off
	s_waitcnt vmcnt(0)
	v_cvt_f32_i32_e32 v4, v4
.LBB20_1330:
	s_mov_b64 s[2:3], 0
.LBB20_1331:
	s_andn2_b64 vcc, exec, s[2:3]
	s_cbranch_vccnz .LBB20_1333
; %bb.1332:
	global_load_sshort v4, v[2:3], off
	s_waitcnt vmcnt(0)
	v_cvt_f32_i32_e32 v4, v4
.LBB20_1333:
	s_mov_b64 s[2:3], 0
.LBB20_1334:
	s_andn2_b64 vcc, exec, s[2:3]
	s_cbranch_vccnz .LBB20_1340
; %bb.1335:
	v_cmp_lt_i16_e32 vcc, 0, v9
	s_cbranch_vccz .LBB20_1337
; %bb.1336:
	global_load_sbyte v4, v[2:3], off
	s_mov_b64 s[2:3], 0
	s_waitcnt vmcnt(0)
	v_cvt_f32_i32_e32 v4, v4
	s_branch .LBB20_1338
.LBB20_1337:
	s_mov_b64 s[2:3], -1
                                        ; implicit-def: $vgpr4
.LBB20_1338:
	s_andn2_b64 vcc, exec, s[2:3]
	s_cbranch_vccnz .LBB20_1340
; %bb.1339:
	global_load_ubyte v2, v[2:3], off
	s_waitcnt vmcnt(0)
	v_cvt_f32_ubyte0_e32 v4, v2
.LBB20_1340:
.LBB20_1341:
	s_waitcnt vmcnt(0)
	v_cmp_neq_f32_e32 vcc, 0, v4
	v_mov_b32_e32 v2, 0x7f800000
	s_and_saveexec_b64 s[16:17], vcc
	s_cbranch_execz .LBB20_1353
; %bb.1342:
	v_cmp_ngt_f32_e32 vcc, 0, v4
	v_mov_b32_e32 v2, 0x7fc00000
	s_and_saveexec_b64 s[18:19], vcc
	s_cbranch_execz .LBB20_1352
; %bb.1343:
	v_cmp_ge_f32_e32 vcc, 2.0, v4
                                        ; implicit-def: $vgpr2
	s_and_saveexec_b64 s[2:3], vcc
	s_xor_b64 s[20:21], exec, s[2:3]
	s_cbranch_execz .LBB20_1349
; %bb.1344:
	s_mov_b32 s2, 0x41000000
	v_mul_f32_e32 v2, 0.5, v4
	v_cmp_ge_f32_e32 vcc, s2, v4
                                        ; implicit-def: $vgpr5
                                        ; implicit-def: $vgpr3
	s_and_saveexec_b64 s[2:3], vcc
	s_xor_b64 s[2:3], exec, s[2:3]
	s_cbranch_execz .LBB20_1346
; %bb.1345:
	v_add_f32_e32 v3, -2.0, v2
	v_mov_b32_e32 v5, 0x24199b15
	v_fmac_f32_e32 v5, 0xa2a2e5b9, v3
	v_mov_b32_e32 v6, 0x22a2e5b9
	v_fmac_f32_e32 v6, v3, v5
	v_add_f32_e32 v6, 0xa58c275c, v6
	v_fma_f32 v5, v3, v6, -v5
	v_add_f32_e32 v5, 0x26f736c5, v5
	v_fma_f32 v6, v3, v5, -v6
	;; [unrolled: 2-line block ×23, first 2 shown]
	v_mul_f32_e32 v7, 0x3fb8aa3b, v4
	v_add_f32_e32 v5, 0x3d49f456, v5
	s_mov_b32 s22, 0x3fb8aa3b
	v_rndne_f32_e32 v11, v7
	v_fma_f32 v6, v3, v5, -v6
	v_sub_f32_e32 v12, v7, v11
	v_fma_f32 v7, v4, s22, -v7
	v_add_f32_e32 v6, 0xbdc25b82, v6
	v_fmac_f32_e32 v7, 0x32a5705f, v4
	v_fma_f32 v5, v3, v6, -v5
	v_add_f32_e32 v7, v12, v7
	v_add_f32_e32 v5, 0x3e2fbd64, v5
	v_exp_f32_e32 v7, v7
	v_cvt_i32_f32_e32 v11, v11
	v_fma_f32 v6, v3, v5, -v6
	v_add_f32_e32 v6, 0xbe9bff5e, v6
	v_fma_f32 v3, v3, v6, -v5
	s_mov_b32 s22, 0xc2ce8ed0
	v_add_f32_e32 v6, 0x3f2d4275, v3
	v_ldexp_f32 v3, v7, v11
	v_cmp_ngt_f32_e32 vcc, s22, v4
	s_mov_b32 s22, 0x42b17218
	v_cndmask_b32_e32 v3, 0, v3, vcc
	v_mov_b32_e32 v7, 0x7f800000
	v_cmp_nlt_f32_e32 vcc, s22, v4
	v_sub_f32_e32 v5, v6, v5
	v_cndmask_b32_e32 v3, v7, v3, vcc
	v_mul_f32_e32 v5, 0.5, v5
	v_mul_f32_e32 v5, v3, v5
.LBB20_1346:
	s_andn2_saveexec_b64 s[22:23], s[2:3]
	s_cbranch_execz .LBB20_1348
; %bb.1347:
	s_mov_b32 s24, 0x42000000
	v_div_scale_f32 v3, s[2:3], v4, v4, s24
	v_rcp_f32_e32 v5, v3
	v_div_scale_f32 v6, vcc, s24, v4, s24
	s_mov_b32 s2, 0x3fb8aa3b
	v_fma_f32 v7, -v3, v5, 1.0
	v_fmac_f32_e32 v5, v7, v5
	v_mul_f32_e32 v7, v6, v5
	v_fma_f32 v11, -v3, v7, v6
	v_fmac_f32_e32 v7, v11, v5
	v_fma_f32 v3, -v3, v7, v6
	v_div_fmas_f32 v3, v3, v5, v7
	v_div_fixup_f32 v3, v3, v4, s24
	v_add_f32_e32 v3, -2.0, v3
	v_mov_b32_e32 v5, 0xa2b236d3
	v_fmac_f32_e32 v5, 0xa3056dbb, v3
	v_mov_b32_e32 v6, 0x23056dbb
	v_fmac_f32_e32 v6, v3, v5
	v_add_f32_e32 v6, 0x244df0c1, v6
	v_fma_f32 v5, v3, v6, -v5
	v_add_f32_e32 v5, 0x241f9ee8, v5
	v_fma_f32 v6, v3, v5, -v6
	;; [unrolled: 2-line block ×18, first 2 shown]
	v_mul_f32_e32 v7, 0x3fb8aa3b, v4
	v_add_f32_e32 v6, 0x345c003f, v6
	v_rndne_f32_e32 v11, v7
	v_fma_f32 v5, v3, v6, -v5
	v_sub_f32_e32 v12, v7, v11
	v_fma_f32 v7, v4, s2, -v7
	v_add_f32_e32 v5, 0x3642095e, v5
	v_fmac_f32_e32 v7, 0x32a5705f, v4
	v_fma_f32 v6, v3, v5, -v6
	v_add_f32_e32 v7, v12, v7
	v_add_f32_e32 v6, 0x38907d1c, v6
	v_exp_f32_e32 v7, v7
	v_cvt_i32_f32_e32 v11, v11
	v_fma_f32 v5, v3, v6, -v5
	v_add_f32_e32 v5, 0x3b5ccc65, v5
	v_fma_f32 v3, v3, v5, -v6
	s_mov_b32 s2, 0xc2ce8ed0
	v_add_f32_e32 v5, 0x3f4df315, v3
	v_ldexp_f32 v3, v7, v11
	v_cmp_ngt_f32_e32 vcc, s2, v4
	s_mov_b32 s2, 0x42b17218
	v_cndmask_b32_e32 v3, 0, v3, vcc
	v_mov_b32_e32 v7, 0x7f800000
	v_cmp_nlt_f32_e32 vcc, s2, v4
	s_mov_b32 s2, 0xf800000
	v_cndmask_b32_e32 v3, v7, v3, vcc
	v_mul_f32_e32 v7, 0x4f800000, v4
	v_cmp_gt_f32_e32 vcc, s2, v4
	v_cndmask_b32_e32 v7, v4, v7, vcc
	v_sqrt_f32_e32 v11, v7
	v_sub_f32_e32 v5, v5, v6
	v_mul_f32_e32 v5, 0.5, v5
	v_mul_f32_e32 v5, v3, v5
	v_add_u32_e32 v6, -1, v11
	v_fma_f32 v12, -v6, v11, v7
	v_cmp_ge_f32_e64 s[2:3], 0, v12
	v_add_u32_e32 v12, 1, v11
	v_cndmask_b32_e64 v6, v11, v6, s[2:3]
	v_fma_f32 v11, -v12, v11, v7
	v_cmp_lt_f32_e64 s[2:3], 0, v11
	v_cndmask_b32_e64 v6, v6, v12, s[2:3]
	v_mul_f32_e32 v11, 0x37800000, v6
	v_cndmask_b32_e32 v6, v6, v11, vcc
	v_mov_b32_e32 v11, 0x260
	v_cmp_class_f32_e32 vcc, v7, v11
	v_cndmask_b32_e32 v6, v6, v7, vcc
	v_div_scale_f32 v7, s[2:3], v6, v6, v5
	v_rcp_f32_e32 v11, v7
	v_fma_f32 v12, -v7, v11, 1.0
	v_fmac_f32_e32 v11, v12, v11
	v_div_scale_f32 v12, vcc, v5, v6, v5
	v_mul_f32_e32 v13, v12, v11
	v_fma_f32 v14, -v7, v13, v12
	v_fmac_f32_e32 v13, v14, v11
	v_fma_f32 v7, -v7, v13, v12
	v_div_fmas_f32 v7, v7, v11, v13
	v_div_fixup_f32 v5, v7, v6, v5
.LBB20_1348:
	s_or_b64 exec, exec, s[22:23]
	v_fma_f32 v4, v4, v4, -2.0
	v_mov_b32_e32 v6, 0x293fd856
	v_fmac_f32_e32 v6, 0x251e770f, v4
	v_mov_b32_e32 v7, 0xa51e770f
	v_fmac_f32_e32 v7, v4, v6
	v_add_f32_e32 v7, 0x2d3612e2, v7
	v_fma_f32 v6, v4, v7, -v6
	v_add_f32_e32 v6, 0x3102e09b, v6
	v_fma_f32 v7, v4, v6, -v7
	;; [unrolled: 2-line block ×6, first 2 shown]
	v_add_f32_e32 v7, 0x3eb046c4, v7
	s_mov_b32 s2, 0x800000
	v_fma_f32 v4, v4, v7, -v6
	v_mov_b32_e32 v7, 0x4f800000
	v_cmp_gt_f32_e32 vcc, s2, v2
	v_cndmask_b32_e32 v7, 1.0, v7, vcc
	v_mul_f32_e32 v2, v2, v7
	v_log_f32_e32 v2, v2
	v_add_f32_e32 v4, 0xbf090b37, v4
	v_sub_f32_e32 v4, v4, v6
	s_mov_b32 s2, 0x3f317217
	v_mul_f32_e32 v6, 0x3f317217, v2
	v_fma_f32 v7, v2, s2, -v6
	v_fmac_f32_e32 v7, 0x3377d1cf, v2
	s_mov_b32 s2, 0x7f800000
	v_add_f32_e32 v6, v6, v7
	v_cmp_lt_f32_e64 s[2:3], |v2|, s2
	v_cndmask_b32_e64 v2, v2, v6, s[2:3]
	v_mov_b32_e32 v6, 0x41b17218
	v_cndmask_b32_e32 v6, 0, v6, vcc
	v_sub_f32_e32 v2, v2, v6
	v_mul_f32_e32 v2, v2, v5
	v_fma_f32 v2, v4, 0.5, -v2
	v_mul_f32_e32 v2, v3, v2
                                        ; implicit-def: $vgpr4
.LBB20_1349:
	s_andn2_saveexec_b64 s[20:21], s[20:21]
	s_cbranch_execz .LBB20_1351
; %bb.1350:
	s_mov_b32 s22, 0x41000000
	v_div_scale_f32 v2, s[2:3], v4, v4, s22
	v_rcp_f32_e32 v3, v2
	v_div_scale_f32 v5, vcc, s22, v4, s22
	s_mov_b32 s2, 0xf800000
	v_fma_f32 v6, -v2, v3, 1.0
	v_fmac_f32_e32 v3, v6, v3
	v_mul_f32_e32 v6, v5, v3
	v_fma_f32 v7, -v2, v6, v5
	v_fmac_f32_e32 v6, v7, v3
	v_fma_f32 v2, -v2, v6, v5
	v_div_fmas_f32 v2, v2, v3, v6
	v_div_fixup_f32 v2, v2, v4, s22
	v_add_f32_e32 v2, -2.0, v2
	v_mov_b32_e32 v3, 0xa397f665
	v_fmac_f32_e32 v3, 0x22c38d2e, v2
	v_mov_b32_e32 v5, 0xa2c38d2e
	v_fmac_f32_e32 v5, v2, v3
	v_add_f32_e32 v5, 0x24704972, v5
	v_fma_f32 v3, v2, v5, -v3
	v_add_f32_e32 v3, 0xa5417ca4, v3
	v_fma_f32 v5, v2, v3, -v5
	;; [unrolled: 2-line block ×22, first 2 shown]
	v_mul_f32_e32 v3, 0x4f800000, v4
	v_cmp_gt_f32_e32 vcc, s2, v4
	v_cndmask_b32_e32 v3, v4, v3, vcc
	v_sqrt_f32_e32 v4, v3
	v_add_f32_e32 v2, 0x401c2ded, v2
	v_sub_f32_e32 v2, v2, v5
	v_mul_f32_e32 v2, 0.5, v2
	v_add_u32_e32 v5, -1, v4
	v_fma_f32 v6, -v5, v4, v3
	v_cmp_ge_f32_e64 s[2:3], 0, v6
	v_add_u32_e32 v6, 1, v4
	v_cndmask_b32_e64 v5, v4, v5, s[2:3]
	v_fma_f32 v4, -v6, v4, v3
	v_cmp_lt_f32_e64 s[2:3], 0, v4
	v_cndmask_b32_e64 v4, v5, v6, s[2:3]
	v_mul_f32_e32 v5, 0x37800000, v4
	v_cndmask_b32_e32 v4, v4, v5, vcc
	v_mov_b32_e32 v5, 0x260
	v_cmp_class_f32_e32 vcc, v3, v5
	v_cndmask_b32_e32 v3, v4, v3, vcc
	v_div_scale_f32 v4, s[2:3], v3, v3, v2
	v_rcp_f32_e32 v5, v4
	v_fma_f32 v6, -v4, v5, 1.0
	v_fmac_f32_e32 v5, v6, v5
	v_div_scale_f32 v6, vcc, v2, v3, v2
	v_mul_f32_e32 v7, v6, v5
	v_fma_f32 v11, -v4, v7, v6
	v_fmac_f32_e32 v7, v11, v5
	v_fma_f32 v4, -v4, v7, v6
	v_div_fmas_f32 v4, v4, v5, v7
	v_div_fixup_f32 v2, v4, v3, v2
.LBB20_1351:
	s_or_b64 exec, exec, s[20:21]
.LBB20_1352:
	s_or_b64 exec, exec, s[18:19]
.LBB20_1353:
	s_or_b64 exec, exec, s[16:17]
	v_add_u32_e32 v1, s13, v1
	v_ashrrev_i32_e32 v3, 31, v1
	v_mov_b32_e32 v5, s11
	v_add_co_u32_e32 v4, vcc, s10, v1
	v_addc_co_u32_e32 v5, vcc, v5, v3, vcc
	s_and_b64 vcc, exec, s[0:1]
	s_cbranch_vccnz .LBB20_1360
; %bb.1354:
	v_cmp_lt_i16_e32 vcc, 25, v9
	s_mov_b64 s[16:17], 0
	s_cbranch_vccz .LBB20_1362
; %bb.1355:
	v_cmp_lt_i16_e32 vcc, 28, v9
	s_cbranch_vccz .LBB20_1363
; %bb.1356:
	v_cmp_lt_i16_e32 vcc, 43, v9
	s_cbranch_vccz .LBB20_1364
; %bb.1357:
	v_cmp_lt_i16_e32 vcc, 45, v9
	s_cbranch_vccz .LBB20_1366
; %bb.1358:
	v_cmp_eq_u16_e32 vcc, 46, v9
	s_mov_b64 s[20:21], 0
	s_cbranch_vccz .LBB20_1367
; %bb.1359:
	global_load_dword v3, v[4:5], off
	s_mov_b64 s[2:3], 0
	s_mov_b64 s[18:19], -1
	s_waitcnt vmcnt(0)
	v_lshlrev_b32_e32 v3, 16, v3
	s_branch .LBB20_1368
.LBB20_1360:
	s_mov_b64 s[18:19], 0
                                        ; implicit-def: $vgpr3
	s_cbranch_execnz .LBB20_1434
.LBB20_1361:
	s_andn2_b64 vcc, exec, s[18:19]
	s_cbranch_vccnz .LBB20_1643
	s_branch .LBB20_1482
.LBB20_1362:
	s_mov_b64 s[20:21], -1
	s_mov_b64 s[18:19], 0
	s_mov_b64 s[2:3], 0
                                        ; implicit-def: $vgpr3
	s_branch .LBB20_1397
.LBB20_1363:
	s_mov_b64 s[20:21], -1
	s_mov_b64 s[18:19], 0
	s_mov_b64 s[2:3], 0
                                        ; implicit-def: $vgpr3
	s_branch .LBB20_1378
.LBB20_1364:
	s_mov_b64 s[20:21], -1
	s_mov_b64 s[18:19], 0
	s_mov_b64 s[2:3], 0
                                        ; implicit-def: $vgpr3
	s_branch .LBB20_1373
.LBB20_1365:
	s_trap 2
	s_or_b64 s[14:15], s[14:15], exec
                                        ; implicit-def: $vgpr4
	s_cbranch_execz .LBB20_1292
	s_branch .LBB20_1293
.LBB20_1366:
	s_mov_b64 s[20:21], -1
	s_mov_b64 s[18:19], 0
	s_mov_b64 s[2:3], 0
                                        ; implicit-def: $vgpr3
	s_branch .LBB20_1368
.LBB20_1367:
	s_mov_b64 s[2:3], -1
                                        ; implicit-def: $vgpr3
	s_mov_b64 s[18:19], 0
.LBB20_1368:
	s_and_b64 vcc, exec, s[20:21]
	s_cbranch_vccz .LBB20_1372
; %bb.1369:
	v_cmp_eq_u16_e32 vcc, 44, v9
	s_cbranch_vccz .LBB20_1371
; %bb.1370:
	global_load_ubyte v3, v[4:5], off
	s_movk_i32 s18, 0xff
	v_mov_b32_e32 v6, 0x7f800001
	v_mov_b32_e32 v7, 0x400000
	s_mov_b64 s[2:3], 0
	s_waitcnt vmcnt(0)
	v_lshlrev_b32_e32 v11, 23, v3
	v_cmp_ne_u32_e32 vcc, s18, v3
	v_cndmask_b32_e32 v6, v6, v11, vcc
	v_cmp_ne_u32_e32 vcc, 0, v3
	v_cndmask_b32_e32 v3, v7, v6, vcc
	s_mov_b64 s[18:19], -1
	s_branch .LBB20_1372
.LBB20_1371:
	s_mov_b64 s[2:3], -1
                                        ; implicit-def: $vgpr3
.LBB20_1372:
	s_mov_b64 s[20:21], 0
.LBB20_1373:
	s_and_b64 vcc, exec, s[20:21]
	s_cbranch_vccz .LBB20_1377
; %bb.1374:
	v_cmp_eq_u16_e32 vcc, 29, v9
	s_cbranch_vccz .LBB20_1376
; %bb.1375:
	global_load_dwordx2 v[6:7], v[4:5], off
	s_mov_b64 s[2:3], 0
	s_mov_b64 s[18:19], -1
	s_mov_b64 s[20:21], 0
	s_waitcnt vmcnt(0)
	v_ffbh_u32_e32 v3, v7
	v_min_u32_e32 v3, 32, v3
	v_lshlrev_b64 v[6:7], v3, v[6:7]
	v_min_u32_e32 v6, 1, v6
	v_or_b32_e32 v6, v7, v6
	v_cvt_f32_u32_e32 v6, v6
	v_sub_u32_e32 v3, 32, v3
	v_ldexp_f32 v3, v6, v3
	s_branch .LBB20_1378
.LBB20_1376:
	s_mov_b64 s[2:3], -1
                                        ; implicit-def: $vgpr3
.LBB20_1377:
	s_mov_b64 s[20:21], 0
.LBB20_1378:
	s_and_b64 vcc, exec, s[20:21]
	s_cbranch_vccz .LBB20_1396
; %bb.1379:
	v_cmp_gt_i16_e32 vcc, 27, v9
	s_cbranch_vccnz .LBB20_1382
; %bb.1380:
	v_cmp_lt_i16_e32 vcc, 27, v9
	s_cbranch_vccz .LBB20_1383
; %bb.1381:
	global_load_dword v3, v[4:5], off
	s_mov_b64 s[18:19], 0
	s_waitcnt vmcnt(0)
	v_cvt_f32_u32_e32 v3, v3
	s_branch .LBB20_1384
.LBB20_1382:
	s_mov_b64 s[18:19], -1
                                        ; implicit-def: $vgpr3
	s_branch .LBB20_1387
.LBB20_1383:
	s_mov_b64 s[18:19], -1
                                        ; implicit-def: $vgpr3
.LBB20_1384:
	s_andn2_b64 vcc, exec, s[18:19]
	s_cbranch_vccnz .LBB20_1386
; %bb.1385:
	global_load_ushort v3, v[4:5], off
	s_waitcnt vmcnt(0)
	v_cvt_f32_u32_e32 v3, v3
.LBB20_1386:
	s_mov_b64 s[18:19], 0
.LBB20_1387:
	s_andn2_b64 vcc, exec, s[18:19]
	s_cbranch_vccnz .LBB20_1395
; %bb.1388:
	global_load_ubyte v6, v[4:5], off
	s_movk_i32 s18, 0x7f
                                        ; implicit-def: $sgpr24
	s_waitcnt vmcnt(0)
	v_cmp_lt_i16_e32 vcc, s18, v6
	s_mov_b64 s[18:19], 0
	s_and_saveexec_b64 s[20:21], vcc
	s_xor_b64 s[20:21], exec, s[20:21]
	s_cbranch_execz .LBB20_1409
; %bb.1389:
	s_movk_i32 s18, 0x80
	v_cmp_eq_u16_e32 vcc, s18, v6
	s_mov_b64 s[18:19], -1
                                        ; implicit-def: $sgpr24
	s_and_saveexec_b64 s[22:23], vcc
; %bb.1390:
	s_mov_b32 s24, 0x7f800001
	s_xor_b64 s[18:19], exec, -1
; %bb.1391:
	s_or_b64 exec, exec, s[22:23]
	s_and_b64 s[18:19], s[18:19], exec
	s_or_saveexec_b64 s[20:21], s[20:21]
	v_mov_b32_e32 v3, s24
	s_xor_b64 exec, exec, s[20:21]
	s_cbranch_execnz .LBB20_1410
.LBB20_1392:
	s_or_b64 exec, exec, s[20:21]
	s_and_saveexec_b64 s[20:21], s[18:19]
	s_cbranch_execz .LBB20_1394
.LBB20_1393:
	v_lshlrev_b32_e32 v3, 24, v6
	v_and_b32_e32 v6, 0xffff, v6
	v_and_b32_e32 v7, 7, v6
	v_ffbh_u32_e32 v12, v7
	v_min_u32_e32 v12, 32, v12
	v_subrev_u32_e32 v13, 28, v12
	v_bfe_u32 v11, v6, 3, 4
	v_lshlrev_b32_e32 v6, v13, v6
	v_sub_u32_e32 v12, 29, v12
	v_and_b32_e32 v6, 7, v6
	v_cmp_eq_u32_e32 vcc, 0, v11
	v_cndmask_b32_e32 v11, v11, v12, vcc
	v_cndmask_b32_e32 v6, v7, v6, vcc
	v_mov_b32_e32 v7, 0x3b800000
	v_lshlrev_b32_e32 v6, 20, v6
	v_and_b32_e32 v3, 0x80000000, v3
	v_lshl_add_u32 v7, v11, 23, v7
	v_or3_b32 v3, v3, v7, v6
.LBB20_1394:
	s_or_b64 exec, exec, s[20:21]
.LBB20_1395:
	s_mov_b64 s[18:19], -1
.LBB20_1396:
	s_mov_b64 s[20:21], 0
.LBB20_1397:
	s_and_b64 vcc, exec, s[20:21]
	s_cbranch_vccz .LBB20_1430
; %bb.1398:
	v_cmp_lt_i16_e32 vcc, 22, v9
	s_cbranch_vccz .LBB20_1408
; %bb.1399:
	v_cmp_gt_i16_e32 vcc, 24, v9
	s_cbranch_vccnz .LBB20_1411
; %bb.1400:
	v_cmp_lt_i16_e32 vcc, 24, v9
	s_cbranch_vccz .LBB20_1412
; %bb.1401:
	global_load_ubyte v6, v[4:5], off
	s_movk_i32 s16, 0x7f
                                        ; implicit-def: $sgpr22
	s_waitcnt vmcnt(0)
	v_cmp_lt_i16_e32 vcc, s16, v6
	s_mov_b64 s[16:17], 0
	s_and_saveexec_b64 s[18:19], vcc
	s_xor_b64 s[18:19], exec, s[18:19]
	s_cbranch_execz .LBB20_1424
; %bb.1402:
	s_movk_i32 s16, 0x80
	v_cmp_eq_u16_e32 vcc, s16, v6
	s_mov_b64 s[16:17], -1
                                        ; implicit-def: $sgpr22
	s_and_saveexec_b64 s[20:21], vcc
; %bb.1403:
	s_mov_b32 s22, 0x7f800001
	s_xor_b64 s[16:17], exec, -1
; %bb.1404:
	s_or_b64 exec, exec, s[20:21]
	s_and_b64 s[16:17], s[16:17], exec
	s_or_saveexec_b64 s[18:19], s[18:19]
	v_mov_b32_e32 v3, s22
	s_xor_b64 exec, exec, s[18:19]
	s_cbranch_execnz .LBB20_1425
.LBB20_1405:
	s_or_b64 exec, exec, s[18:19]
	s_and_saveexec_b64 s[18:19], s[16:17]
	s_cbranch_execz .LBB20_1407
.LBB20_1406:
	v_lshlrev_b32_e32 v3, 24, v6
	v_and_b32_e32 v6, 0xffff, v6
	v_and_b32_e32 v7, 3, v6
	v_ffbh_u32_e32 v12, v7
	v_min_u32_e32 v12, 32, v12
	v_subrev_u32_e32 v13, 29, v12
	v_bfe_u32 v11, v6, 2, 5
	v_lshlrev_b32_e32 v6, v13, v6
	v_sub_u32_e32 v12, 30, v12
	v_and_b32_e32 v6, 3, v6
	v_cmp_eq_u32_e32 vcc, 0, v11
	v_cndmask_b32_e32 v11, v11, v12, vcc
	v_cndmask_b32_e32 v6, v7, v6, vcc
	v_mov_b32_e32 v7, 0x37800000
	v_lshlrev_b32_e32 v6, 21, v6
	v_and_b32_e32 v3, 0x80000000, v3
	v_lshl_add_u32 v7, v11, 23, v7
	v_or3_b32 v3, v3, v7, v6
.LBB20_1407:
	s_or_b64 exec, exec, s[18:19]
	s_mov_b64 s[16:17], 0
	s_branch .LBB20_1413
.LBB20_1408:
	s_mov_b64 s[16:17], -1
                                        ; implicit-def: $vgpr3
	s_branch .LBB20_1419
.LBB20_1409:
	s_or_saveexec_b64 s[20:21], s[20:21]
	v_mov_b32_e32 v3, s24
	s_xor_b64 exec, exec, s[20:21]
	s_cbranch_execz .LBB20_1392
.LBB20_1410:
	v_cmp_ne_u16_e32 vcc, 0, v6
	s_andn2_b64 s[18:19], s[18:19], exec
	s_and_b64 s[22:23], vcc, exec
	v_mov_b32_e32 v3, 0
	s_or_b64 s[18:19], s[18:19], s[22:23]
	s_or_b64 exec, exec, s[20:21]
	s_and_saveexec_b64 s[20:21], s[18:19]
	s_cbranch_execnz .LBB20_1393
	s_branch .LBB20_1394
.LBB20_1411:
	s_mov_b64 s[16:17], -1
                                        ; implicit-def: $vgpr3
	s_branch .LBB20_1416
.LBB20_1412:
	s_mov_b64 s[16:17], -1
                                        ; implicit-def: $vgpr3
.LBB20_1413:
	s_and_b64 vcc, exec, s[16:17]
	s_cbranch_vccz .LBB20_1415
; %bb.1414:
	global_load_ubyte v3, v[4:5], off
	s_mov_b32 s16, 0x7f800000
	s_waitcnt vmcnt(0)
	v_lshlrev_b32_e32 v3, 24, v3
	v_and_b32_e32 v6, 0x7f000000, v3
	v_ffbh_u32_e32 v7, v6
	v_min_u32_e32 v7, 32, v7
	v_sub_u32_e64 v7, v7, 4 clamp
	v_lshlrev_b32_e32 v12, v7, v6
	v_lshlrev_b32_e32 v7, 23, v7
	v_lshrrev_b32_e32 v12, 4, v12
	v_add_u32_e32 v11, 0x1000000, v6
	v_sub_u32_e32 v7, v12, v7
	v_ashrrev_i32_e32 v11, 8, v11
	v_add_u32_e32 v7, 0x3c000000, v7
	v_and_or_b32 v7, v11, s16, v7
	v_cmp_ne_u32_e32 vcc, 0, v6
	v_cndmask_b32_e32 v6, 0, v7, vcc
	s_brev_b32 s16, 1
	v_and_or_b32 v3, v3, s16, v6
.LBB20_1415:
	s_mov_b64 s[16:17], 0
.LBB20_1416:
	s_andn2_b64 vcc, exec, s[16:17]
	s_cbranch_vccnz .LBB20_1418
; %bb.1417:
	global_load_ubyte v3, v[4:5], off
	s_movk_i32 s16, 0x7f00
	s_brev_b32 s17, 16
	s_waitcnt vmcnt(0)
	v_lshlrev_b16_e32 v6, 8, v3
	v_lshlrev_b32_e32 v3, 25, v3
	v_lshrrev_b32_e32 v7, 4, v3
	v_and_or_b32 v11, v6, s16, 0.5
	v_or_b32_e32 v7, 0x70000000, v7
	v_add_f32_e32 v11, -0.5, v11
	v_mul_f32_e32 v7, 0x7800000, v7
	v_cmp_gt_u32_e32 vcc, s17, v3
	v_bfe_i32 v6, v6, 0, 16
	v_cndmask_b32_e32 v3, v7, v11, vcc
	s_brev_b32 s16, 1
	v_and_or_b32 v3, v6, s16, v3
.LBB20_1418:
	s_mov_b64 s[16:17], 0
	s_mov_b64 s[18:19], -1
.LBB20_1419:
	s_andn2_b64 vcc, exec, s[16:17]
	s_mov_b64 s[16:17], 0
	s_cbranch_vccnz .LBB20_1430
; %bb.1420:
	v_cmp_lt_i16_e32 vcc, 14, v9
	s_cbranch_vccz .LBB20_1423
; %bb.1421:
	v_cmp_eq_u16_e32 vcc, 15, v9
	s_cbranch_vccz .LBB20_1426
; %bb.1422:
	global_load_ushort v3, v[4:5], off
	s_mov_b64 s[2:3], 0
	s_mov_b64 s[18:19], -1
	s_waitcnt vmcnt(0)
	v_lshlrev_b32_e32 v3, 16, v3
	s_branch .LBB20_1427
.LBB20_1423:
	s_mov_b64 s[20:21], -1
                                        ; implicit-def: $vgpr3
	s_branch .LBB20_1428
.LBB20_1424:
	s_or_saveexec_b64 s[18:19], s[18:19]
	v_mov_b32_e32 v3, s22
	s_xor_b64 exec, exec, s[18:19]
	s_cbranch_execz .LBB20_1405
.LBB20_1425:
	v_cmp_ne_u16_e32 vcc, 0, v6
	s_andn2_b64 s[16:17], s[16:17], exec
	s_and_b64 s[20:21], vcc, exec
	v_mov_b32_e32 v3, 0
	s_or_b64 s[16:17], s[16:17], s[20:21]
	s_or_b64 exec, exec, s[18:19]
	s_and_saveexec_b64 s[18:19], s[16:17]
	s_cbranch_execnz .LBB20_1406
	s_branch .LBB20_1407
.LBB20_1426:
	s_mov_b64 s[2:3], -1
                                        ; implicit-def: $vgpr3
.LBB20_1427:
	s_mov_b64 s[20:21], 0
.LBB20_1428:
	s_and_b64 vcc, exec, s[20:21]
	s_cbranch_vccz .LBB20_1430
; %bb.1429:
	v_cmp_ne_u16_e64 s[2:3], 11, v9
	s_mov_b64 s[16:17], -1
                                        ; implicit-def: $vgpr3
.LBB20_1430:
	s_and_b64 vcc, exec, s[2:3]
	s_cbranch_vccnz .LBB20_1505
; %bb.1431:
	s_andn2_b64 vcc, exec, s[16:17]
	s_cbranch_vccnz .LBB20_1433
.LBB20_1432:
	global_load_ubyte v3, v[4:5], off
	s_mov_b64 s[18:19], -1
	s_waitcnt vmcnt(0)
	v_cmp_ne_u16_e32 vcc, 0, v3
	v_cndmask_b32_e64 v3, 0, 1.0, vcc
.LBB20_1433:
	s_branch .LBB20_1361
.LBB20_1434:
	v_cmp_gt_i16_e32 vcc, 5, v9
	s_cbranch_vccnz .LBB20_1439
; %bb.1435:
	v_cmp_gt_i16_e32 vcc, 8, v9
	s_cbranch_vccnz .LBB20_1440
; %bb.1436:
	;; [unrolled: 3-line block ×3, first 2 shown]
	v_cmp_lt_i16_e32 vcc, 9, v9
	s_cbranch_vccz .LBB20_1442
; %bb.1438:
	global_load_dwordx2 v[6:7], v[4:5], off
	s_mov_b64 s[2:3], 0
	s_waitcnt vmcnt(0)
	v_cvt_f32_f64_e32 v3, v[6:7]
	s_branch .LBB20_1443
.LBB20_1439:
	s_mov_b64 s[2:3], -1
                                        ; implicit-def: $vgpr3
	s_branch .LBB20_1461
.LBB20_1440:
	s_mov_b64 s[2:3], -1
                                        ; implicit-def: $vgpr3
	s_branch .LBB20_1449
.LBB20_1441:
	s_mov_b64 s[2:3], -1
                                        ; implicit-def: $vgpr3
	s_branch .LBB20_1446
.LBB20_1442:
	s_mov_b64 s[2:3], -1
                                        ; implicit-def: $vgpr3
.LBB20_1443:
	s_andn2_b64 vcc, exec, s[2:3]
	s_cbranch_vccnz .LBB20_1445
; %bb.1444:
	global_load_dword v3, v[4:5], off
.LBB20_1445:
	s_mov_b64 s[2:3], 0
.LBB20_1446:
	s_andn2_b64 vcc, exec, s[2:3]
	s_cbranch_vccnz .LBB20_1448
; %bb.1447:
	global_load_dword v3, v[4:5], off
	s_waitcnt vmcnt(0)
	v_cvt_f32_f16_e32 v3, v3
.LBB20_1448:
	s_mov_b64 s[2:3], 0
.LBB20_1449:
	s_andn2_b64 vcc, exec, s[2:3]
	s_cbranch_vccnz .LBB20_1460
; %bb.1450:
	v_cmp_gt_i16_e32 vcc, 6, v9
	s_cbranch_vccnz .LBB20_1453
; %bb.1451:
	v_cmp_lt_i16_e32 vcc, 6, v9
	s_cbranch_vccz .LBB20_1454
; %bb.1452:
	global_load_dwordx2 v[6:7], v[4:5], off
	s_mov_b64 s[2:3], 0
	s_waitcnt vmcnt(0)
	v_cvt_f32_f64_e32 v3, v[6:7]
	s_branch .LBB20_1455
.LBB20_1453:
	s_mov_b64 s[2:3], -1
                                        ; implicit-def: $vgpr3
	s_branch .LBB20_1458
.LBB20_1454:
	s_mov_b64 s[2:3], -1
                                        ; implicit-def: $vgpr3
.LBB20_1455:
	s_andn2_b64 vcc, exec, s[2:3]
	s_cbranch_vccnz .LBB20_1457
; %bb.1456:
	global_load_dword v3, v[4:5], off
.LBB20_1457:
	s_mov_b64 s[2:3], 0
.LBB20_1458:
	s_andn2_b64 vcc, exec, s[2:3]
	s_cbranch_vccnz .LBB20_1460
; %bb.1459:
	global_load_ushort v3, v[4:5], off
	s_waitcnt vmcnt(0)
	v_cvt_f32_f16_e32 v3, v3
.LBB20_1460:
	s_mov_b64 s[2:3], 0
.LBB20_1461:
	s_andn2_b64 vcc, exec, s[2:3]
	s_cbranch_vccnz .LBB20_1481
; %bb.1462:
	v_cmp_gt_i16_e32 vcc, 2, v9
	s_cbranch_vccnz .LBB20_1466
; %bb.1463:
	v_cmp_gt_i16_e32 vcc, 3, v9
	s_cbranch_vccnz .LBB20_1467
; %bb.1464:
	v_cmp_lt_i16_e32 vcc, 3, v9
	s_cbranch_vccz .LBB20_1468
; %bb.1465:
	global_load_dwordx2 v[6:7], v[4:5], off
	s_mov_b64 s[2:3], 0
	s_waitcnt vmcnt(0)
	v_xor_b32_e32 v11, v6, v7
	v_ffbh_i32_e32 v3, v7
	v_ashrrev_i32_e32 v11, 31, v11
	v_add_u32_e32 v3, -1, v3
	v_add_u32_e32 v11, 32, v11
	v_min_u32_e32 v3, v3, v11
	v_lshlrev_b64 v[6:7], v3, v[6:7]
	v_min_u32_e32 v6, 1, v6
	v_or_b32_e32 v6, v7, v6
	v_cvt_f32_i32_e32 v6, v6
	v_sub_u32_e32 v3, 32, v3
	v_ldexp_f32 v3, v6, v3
	s_branch .LBB20_1469
.LBB20_1466:
	s_mov_b64 s[2:3], -1
                                        ; implicit-def: $vgpr3
	s_branch .LBB20_1475
.LBB20_1467:
	s_mov_b64 s[2:3], -1
                                        ; implicit-def: $vgpr3
	s_branch .LBB20_1472
.LBB20_1468:
	s_mov_b64 s[2:3], -1
                                        ; implicit-def: $vgpr3
.LBB20_1469:
	s_andn2_b64 vcc, exec, s[2:3]
	s_cbranch_vccnz .LBB20_1471
; %bb.1470:
	global_load_dword v3, v[4:5], off
	s_waitcnt vmcnt(0)
	v_cvt_f32_i32_e32 v3, v3
.LBB20_1471:
	s_mov_b64 s[2:3], 0
.LBB20_1472:
	s_andn2_b64 vcc, exec, s[2:3]
	s_cbranch_vccnz .LBB20_1474
; %bb.1473:
	global_load_sshort v3, v[4:5], off
	s_waitcnt vmcnt(0)
	v_cvt_f32_i32_e32 v3, v3
.LBB20_1474:
	s_mov_b64 s[2:3], 0
.LBB20_1475:
	s_andn2_b64 vcc, exec, s[2:3]
	s_cbranch_vccnz .LBB20_1481
; %bb.1476:
	v_cmp_lt_i16_e32 vcc, 0, v9
	s_cbranch_vccz .LBB20_1478
; %bb.1477:
	global_load_sbyte v3, v[4:5], off
	s_mov_b64 s[2:3], 0
	s_waitcnt vmcnt(0)
	v_cvt_f32_i32_e32 v3, v3
	s_branch .LBB20_1479
.LBB20_1478:
	s_mov_b64 s[2:3], -1
                                        ; implicit-def: $vgpr3
.LBB20_1479:
	s_andn2_b64 vcc, exec, s[2:3]
	s_cbranch_vccnz .LBB20_1481
; %bb.1480:
	global_load_ubyte v3, v[4:5], off
	s_waitcnt vmcnt(0)
	v_cvt_f32_ubyte0_e32 v3, v3
.LBB20_1481:
.LBB20_1482:
	s_waitcnt vmcnt(0)
	v_cmp_neq_f32_e32 vcc, 0, v3
	v_mov_b32_e32 v4, 0x7f800000
	s_and_saveexec_b64 s[16:17], vcc
	s_cbranch_execz .LBB20_1494
; %bb.1483:
	v_cmp_ngt_f32_e32 vcc, 0, v3
	v_mov_b32_e32 v4, 0x7fc00000
	s_and_saveexec_b64 s[18:19], vcc
	s_cbranch_execz .LBB20_1493
; %bb.1484:
	v_cmp_ge_f32_e32 vcc, 2.0, v3
                                        ; implicit-def: $vgpr4
	s_and_saveexec_b64 s[2:3], vcc
	s_xor_b64 s[20:21], exec, s[2:3]
	s_cbranch_execz .LBB20_1490
; %bb.1485:
	s_mov_b32 s2, 0x41000000
	v_mul_f32_e32 v4, 0.5, v3
	v_cmp_ge_f32_e32 vcc, s2, v3
                                        ; implicit-def: $vgpr6
                                        ; implicit-def: $vgpr5
	s_and_saveexec_b64 s[2:3], vcc
	s_xor_b64 s[2:3], exec, s[2:3]
	s_cbranch_execz .LBB20_1487
; %bb.1486:
	v_add_f32_e32 v5, -2.0, v4
	v_mov_b32_e32 v6, 0x24199b15
	v_fmac_f32_e32 v6, 0xa2a2e5b9, v5
	v_mov_b32_e32 v7, 0x22a2e5b9
	v_fmac_f32_e32 v7, v5, v6
	v_add_f32_e32 v7, 0xa58c275c, v7
	v_fma_f32 v6, v5, v7, -v6
	v_add_f32_e32 v6, 0x26f736c5, v6
	v_fma_f32 v7, v5, v6, -v7
	;; [unrolled: 2-line block ×23, first 2 shown]
	v_mul_f32_e32 v11, 0x3fb8aa3b, v3
	v_add_f32_e32 v6, 0x3d49f456, v6
	s_mov_b32 s22, 0x3fb8aa3b
	v_rndne_f32_e32 v12, v11
	v_fma_f32 v7, v5, v6, -v7
	v_sub_f32_e32 v13, v11, v12
	v_fma_f32 v11, v3, s22, -v11
	v_add_f32_e32 v7, 0xbdc25b82, v7
	v_fmac_f32_e32 v11, 0x32a5705f, v3
	v_fma_f32 v6, v5, v7, -v6
	v_add_f32_e32 v11, v13, v11
	v_add_f32_e32 v6, 0x3e2fbd64, v6
	v_exp_f32_e32 v11, v11
	v_cvt_i32_f32_e32 v12, v12
	v_fma_f32 v7, v5, v6, -v7
	v_add_f32_e32 v7, 0xbe9bff5e, v7
	v_fma_f32 v5, v5, v7, -v6
	s_mov_b32 s22, 0xc2ce8ed0
	v_add_f32_e32 v7, 0x3f2d4275, v5
	v_ldexp_f32 v5, v11, v12
	v_cmp_ngt_f32_e32 vcc, s22, v3
	s_mov_b32 s22, 0x42b17218
	v_cndmask_b32_e32 v5, 0, v5, vcc
	v_mov_b32_e32 v11, 0x7f800000
	v_cmp_nlt_f32_e32 vcc, s22, v3
	v_sub_f32_e32 v6, v7, v6
	v_cndmask_b32_e32 v5, v11, v5, vcc
	v_mul_f32_e32 v6, 0.5, v6
	v_mul_f32_e32 v6, v5, v6
.LBB20_1487:
	s_andn2_saveexec_b64 s[22:23], s[2:3]
	s_cbranch_execz .LBB20_1489
; %bb.1488:
	s_mov_b32 s24, 0x42000000
	v_div_scale_f32 v5, s[2:3], v3, v3, s24
	v_rcp_f32_e32 v6, v5
	v_div_scale_f32 v7, vcc, s24, v3, s24
	s_mov_b32 s2, 0x3fb8aa3b
	v_fma_f32 v11, -v5, v6, 1.0
	v_fmac_f32_e32 v6, v11, v6
	v_mul_f32_e32 v11, v7, v6
	v_fma_f32 v12, -v5, v11, v7
	v_fmac_f32_e32 v11, v12, v6
	v_fma_f32 v5, -v5, v11, v7
	v_div_fmas_f32 v5, v5, v6, v11
	v_div_fixup_f32 v5, v5, v3, s24
	v_add_f32_e32 v5, -2.0, v5
	v_mov_b32_e32 v6, 0xa2b236d3
	v_fmac_f32_e32 v6, 0xa3056dbb, v5
	v_mov_b32_e32 v7, 0x23056dbb
	v_fmac_f32_e32 v7, v5, v6
	v_add_f32_e32 v7, 0x244df0c1, v7
	v_fma_f32 v6, v5, v7, -v6
	v_add_f32_e32 v6, 0x241f9ee8, v6
	v_fma_f32 v7, v5, v6, -v7
	v_add_f32_e32 v7, 0xa5a3005d, v7
	v_fma_f32 v6, v5, v7, -v6
	v_add_f32_e32 v6, 0xa5c5773f, v6
	v_fma_f32 v7, v5, v6, -v7
	v_add_f32_e32 v7, 0x26ff73ed, v7
	v_fma_f32 v6, v5, v7, -v6
	v_add_f32_e32 v6, 0x2789548d, v6
	v_fma_f32 v7, v5, v6, -v7
	v_add_f32_e32 v7, 0xa82c1ff4, v7
	v_fma_f32 v6, v5, v7, -v6
	v_add_f32_e32 v6, 0xa93aecce, v6
	v_fma_f32 v7, v5, v6, -v7
	v_add_f32_e32 v7, 0x288ab7f8, v7
	v_fma_f32 v6, v5, v7, -v6
	v_add_f32_e32 v6, 0x2ad8e463, v6
	v_fma_f32 v7, v5, v6, -v7
	v_add_f32_e32 v7, 0x2b4a1a40, v7
	v_fma_f32 v6, v5, v7, -v6
	v_add_f32_e32 v6, 0xabfc8218, v6
	v_fma_f32 v7, v5, v6, -v7
	v_add_f32_e32 v7, 0xad687eba, v7
	v_fma_f32 v6, v5, v7, -v6
	v_add_f32_e32 v6, 0xae0a88e8, v6
	v_fma_f32 v7, v5, v6, -v7
	v_add_f32_e32 v7, 0x2d5127f5, v7
	v_fma_f32 v6, v5, v7, -v6
	v_add_f32_e32 v6, 0x3007ce66, v6
	v_fma_f32 v7, v5, v6, -v7
	v_add_f32_e32 v7, 0x31696325, v7
	v_fma_f32 v6, v5, v7, -v6
	v_add_f32_e32 v6, 0x32c2b494, v6
	v_fma_f32 v7, v5, v6, -v7
	v_mul_f32_e32 v11, 0x3fb8aa3b, v3
	v_add_f32_e32 v7, 0x345c003f, v7
	v_rndne_f32_e32 v12, v11
	v_fma_f32 v6, v5, v7, -v6
	v_sub_f32_e32 v13, v11, v12
	v_fma_f32 v11, v3, s2, -v11
	v_add_f32_e32 v6, 0x3642095e, v6
	v_fmac_f32_e32 v11, 0x32a5705f, v3
	v_fma_f32 v7, v5, v6, -v7
	v_add_f32_e32 v11, v13, v11
	v_add_f32_e32 v7, 0x38907d1c, v7
	v_exp_f32_e32 v11, v11
	v_cvt_i32_f32_e32 v12, v12
	v_fma_f32 v6, v5, v7, -v6
	v_add_f32_e32 v6, 0x3b5ccc65, v6
	v_fma_f32 v5, v5, v6, -v7
	s_mov_b32 s2, 0xc2ce8ed0
	v_add_f32_e32 v6, 0x3f4df315, v5
	v_ldexp_f32 v5, v11, v12
	v_cmp_ngt_f32_e32 vcc, s2, v3
	s_mov_b32 s2, 0x42b17218
	v_cndmask_b32_e32 v5, 0, v5, vcc
	v_mov_b32_e32 v11, 0x7f800000
	v_cmp_nlt_f32_e32 vcc, s2, v3
	s_mov_b32 s2, 0xf800000
	v_cndmask_b32_e32 v5, v11, v5, vcc
	v_mul_f32_e32 v11, 0x4f800000, v3
	v_cmp_gt_f32_e32 vcc, s2, v3
	v_cndmask_b32_e32 v11, v3, v11, vcc
	v_sqrt_f32_e32 v12, v11
	v_sub_f32_e32 v6, v6, v7
	v_mul_f32_e32 v6, 0.5, v6
	v_mul_f32_e32 v6, v5, v6
	v_add_u32_e32 v7, -1, v12
	v_fma_f32 v13, -v7, v12, v11
	v_cmp_ge_f32_e64 s[2:3], 0, v13
	v_add_u32_e32 v13, 1, v12
	v_cndmask_b32_e64 v7, v12, v7, s[2:3]
	v_fma_f32 v12, -v13, v12, v11
	v_cmp_lt_f32_e64 s[2:3], 0, v12
	v_cndmask_b32_e64 v7, v7, v13, s[2:3]
	v_mul_f32_e32 v12, 0x37800000, v7
	v_cndmask_b32_e32 v7, v7, v12, vcc
	v_mov_b32_e32 v12, 0x260
	v_cmp_class_f32_e32 vcc, v11, v12
	v_cndmask_b32_e32 v7, v7, v11, vcc
	v_div_scale_f32 v11, s[2:3], v7, v7, v6
	v_rcp_f32_e32 v12, v11
	v_fma_f32 v13, -v11, v12, 1.0
	v_fmac_f32_e32 v12, v13, v12
	v_div_scale_f32 v13, vcc, v6, v7, v6
	v_mul_f32_e32 v14, v13, v12
	v_fma_f32 v15, -v11, v14, v13
	v_fmac_f32_e32 v14, v15, v12
	v_fma_f32 v11, -v11, v14, v13
	v_div_fmas_f32 v11, v11, v12, v14
	v_div_fixup_f32 v6, v11, v7, v6
.LBB20_1489:
	s_or_b64 exec, exec, s[22:23]
	v_fma_f32 v3, v3, v3, -2.0
	v_mov_b32_e32 v7, 0x293fd856
	v_fmac_f32_e32 v7, 0x251e770f, v3
	v_mov_b32_e32 v11, 0xa51e770f
	v_fmac_f32_e32 v11, v3, v7
	v_add_f32_e32 v11, 0x2d3612e2, v11
	v_fma_f32 v7, v3, v11, -v7
	v_add_f32_e32 v7, 0x3102e09b, v7
	v_fma_f32 v11, v3, v7, -v11
	v_add_f32_e32 v11, 0x348815e7, v11
	v_fma_f32 v7, v3, v11, -v7
	v_add_f32_e32 v7, 0x37bfc808, v7
	v_fma_f32 v11, v3, v7, -v11
	v_add_f32_e32 v11, 0x3aa5c174, v11
	v_fma_f32 v7, v3, v11, -v7
	v_add_f32_e32 v7, 0x3d135fb3, v7
	v_fma_f32 v11, v3, v7, -v11
	v_add_f32_e32 v11, 0x3eb046c4, v11
	s_mov_b32 s2, 0x800000
	v_fma_f32 v3, v3, v11, -v7
	v_mov_b32_e32 v11, 0x4f800000
	v_cmp_gt_f32_e32 vcc, s2, v4
	v_cndmask_b32_e32 v11, 1.0, v11, vcc
	v_mul_f32_e32 v4, v4, v11
	v_log_f32_e32 v4, v4
	v_add_f32_e32 v3, 0xbf090b37, v3
	v_sub_f32_e32 v3, v3, v7
	s_mov_b32 s2, 0x3f317217
	v_mul_f32_e32 v7, 0x3f317217, v4
	v_fma_f32 v11, v4, s2, -v7
	v_fmac_f32_e32 v11, 0x3377d1cf, v4
	s_mov_b32 s2, 0x7f800000
	v_add_f32_e32 v7, v7, v11
	v_cmp_lt_f32_e64 s[2:3], |v4|, s2
	v_cndmask_b32_e64 v4, v4, v7, s[2:3]
	v_mov_b32_e32 v7, 0x41b17218
	v_cndmask_b32_e32 v7, 0, v7, vcc
	v_sub_f32_e32 v4, v4, v7
	v_mul_f32_e32 v4, v4, v6
	v_fma_f32 v3, v3, 0.5, -v4
	v_mul_f32_e32 v4, v5, v3
                                        ; implicit-def: $vgpr3
.LBB20_1490:
	s_andn2_saveexec_b64 s[20:21], s[20:21]
	s_cbranch_execz .LBB20_1492
; %bb.1491:
	s_mov_b32 s22, 0x41000000
	v_div_scale_f32 v4, s[2:3], v3, v3, s22
	v_rcp_f32_e32 v5, v4
	v_div_scale_f32 v6, vcc, s22, v3, s22
	s_mov_b32 s2, 0xf800000
	v_fma_f32 v7, -v4, v5, 1.0
	v_fmac_f32_e32 v5, v7, v5
	v_mul_f32_e32 v7, v6, v5
	v_fma_f32 v11, -v4, v7, v6
	v_fmac_f32_e32 v7, v11, v5
	v_fma_f32 v4, -v4, v7, v6
	v_div_fmas_f32 v4, v4, v5, v7
	v_div_fixup_f32 v4, v4, v3, s22
	v_add_f32_e32 v4, -2.0, v4
	v_mov_b32_e32 v5, 0xa397f665
	v_fmac_f32_e32 v5, 0x22c38d2e, v4
	v_mov_b32_e32 v6, 0xa2c38d2e
	v_fmac_f32_e32 v6, v4, v5
	v_add_f32_e32 v6, 0x24704972, v6
	v_fma_f32 v5, v4, v6, -v5
	v_add_f32_e32 v5, 0xa5417ca4, v5
	v_fma_f32 v6, v4, v5, -v6
	;; [unrolled: 2-line block ×22, first 2 shown]
	v_mul_f32_e32 v5, 0x4f800000, v3
	v_cmp_gt_f32_e32 vcc, s2, v3
	v_cndmask_b32_e32 v3, v3, v5, vcc
	v_sqrt_f32_e32 v5, v3
	v_add_f32_e32 v4, 0x401c2ded, v4
	v_sub_f32_e32 v4, v4, v6
	v_mul_f32_e32 v4, 0.5, v4
	v_add_u32_e32 v6, -1, v5
	v_fma_f32 v7, -v6, v5, v3
	v_cmp_ge_f32_e64 s[2:3], 0, v7
	v_add_u32_e32 v7, 1, v5
	v_cndmask_b32_e64 v6, v5, v6, s[2:3]
	v_fma_f32 v5, -v7, v5, v3
	v_cmp_lt_f32_e64 s[2:3], 0, v5
	v_cndmask_b32_e64 v5, v6, v7, s[2:3]
	v_mul_f32_e32 v6, 0x37800000, v5
	v_cndmask_b32_e32 v5, v5, v6, vcc
	v_mov_b32_e32 v6, 0x260
	v_cmp_class_f32_e32 vcc, v3, v6
	v_cndmask_b32_e32 v3, v5, v3, vcc
	v_div_scale_f32 v5, s[2:3], v3, v3, v4
	v_rcp_f32_e32 v6, v5
	v_fma_f32 v7, -v5, v6, 1.0
	v_fmac_f32_e32 v6, v7, v6
	v_div_scale_f32 v7, vcc, v4, v3, v4
	v_mul_f32_e32 v11, v7, v6
	v_fma_f32 v12, -v5, v11, v7
	v_fmac_f32_e32 v11, v12, v6
	v_fma_f32 v5, -v5, v11, v7
	v_div_fmas_f32 v5, v5, v6, v11
	v_div_fixup_f32 v4, v5, v3, v4
.LBB20_1492:
	s_or_b64 exec, exec, s[20:21]
.LBB20_1493:
	s_or_b64 exec, exec, s[18:19]
.LBB20_1494:
	s_or_b64 exec, exec, s[16:17]
	v_add_u32_e32 v1, s13, v1
	v_ashrrev_i32_e32 v3, 31, v1
	v_mov_b32_e32 v5, s11
	v_add_co_u32_e32 v6, vcc, s10, v1
	v_addc_co_u32_e32 v7, vcc, v5, v3, vcc
	s_and_b64 vcc, exec, s[0:1]
	s_cbranch_vccnz .LBB20_1501
; %bb.1495:
	v_cmp_lt_i16_e32 vcc, 25, v9
	s_mov_b64 s[2:3], 0
	s_cbranch_vccz .LBB20_1502
; %bb.1496:
	v_cmp_lt_i16_e32 vcc, 28, v9
	s_cbranch_vccz .LBB20_1503
; %bb.1497:
	v_cmp_lt_i16_e32 vcc, 43, v9
	;; [unrolled: 3-line block ×3, first 2 shown]
	s_cbranch_vccz .LBB20_1506
; %bb.1499:
	v_cmp_eq_u16_e32 vcc, 46, v9
	s_mov_b64 s[16:17], 0
	s_cbranch_vccz .LBB20_1507
; %bb.1500:
	global_load_dword v1, v[6:7], off
	s_mov_b64 s[0:1], 0
	s_mov_b64 s[10:11], -1
	s_waitcnt vmcnt(0)
	v_lshlrev_b32_e32 v1, 16, v1
	s_branch .LBB20_1508
.LBB20_1501:
	s_mov_b64 s[0:1], -1
	s_mov_b64 s[10:11], 0
                                        ; implicit-def: $vgpr1
	s_branch .LBB20_1574
.LBB20_1502:
	s_mov_b64 s[16:17], -1
	s_mov_b64 s[10:11], 0
	s_mov_b64 s[0:1], 0
                                        ; implicit-def: $vgpr1
	s_branch .LBB20_1537
.LBB20_1503:
	s_mov_b64 s[16:17], -1
	s_mov_b64 s[10:11], 0
	s_mov_b64 s[0:1], 0
                                        ; implicit-def: $vgpr1
	s_branch .LBB20_1518
.LBB20_1504:
	s_mov_b64 s[16:17], -1
	s_mov_b64 s[10:11], 0
	s_mov_b64 s[0:1], 0
                                        ; implicit-def: $vgpr1
	s_branch .LBB20_1513
.LBB20_1505:
	s_trap 2
	s_or_b64 s[14:15], s[14:15], exec
                                        ; implicit-def: $vgpr3
	s_cbranch_execz .LBB20_1432
	s_branch .LBB20_1433
.LBB20_1506:
	s_mov_b64 s[16:17], -1
	s_mov_b64 s[10:11], 0
	s_mov_b64 s[0:1], 0
                                        ; implicit-def: $vgpr1
	s_branch .LBB20_1508
.LBB20_1507:
	s_mov_b64 s[0:1], -1
                                        ; implicit-def: $vgpr1
	s_mov_b64 s[10:11], 0
.LBB20_1508:
	s_and_b64 vcc, exec, s[16:17]
	s_cbranch_vccz .LBB20_1512
; %bb.1509:
	v_cmp_eq_u16_e32 vcc, 44, v9
	s_cbranch_vccz .LBB20_1511
; %bb.1510:
	global_load_ubyte v1, v[6:7], off
	s_movk_i32 s10, 0xff
	v_mov_b32_e32 v3, 0x7f800001
	v_mov_b32_e32 v5, 0x400000
	s_mov_b64 s[0:1], 0
	s_waitcnt vmcnt(0)
	v_lshlrev_b32_e32 v11, 23, v1
	v_cmp_ne_u32_e32 vcc, s10, v1
	v_cndmask_b32_e32 v3, v3, v11, vcc
	v_cmp_ne_u32_e32 vcc, 0, v1
	v_cndmask_b32_e32 v1, v5, v3, vcc
	s_mov_b64 s[10:11], -1
	s_branch .LBB20_1512
.LBB20_1511:
	s_mov_b64 s[0:1], -1
                                        ; implicit-def: $vgpr1
.LBB20_1512:
	s_mov_b64 s[16:17], 0
.LBB20_1513:
	s_and_b64 vcc, exec, s[16:17]
	s_cbranch_vccz .LBB20_1517
; %bb.1514:
	v_cmp_eq_u16_e32 vcc, 29, v9
	s_cbranch_vccz .LBB20_1516
; %bb.1515:
	global_load_dwordx2 v[12:13], v[6:7], off
	s_mov_b64 s[0:1], 0
	s_mov_b64 s[10:11], -1
	s_mov_b64 s[16:17], 0
	s_waitcnt vmcnt(0)
	v_ffbh_u32_e32 v1, v13
	v_min_u32_e32 v1, 32, v1
	v_lshlrev_b64 v[12:13], v1, v[12:13]
	v_min_u32_e32 v3, 1, v12
	v_or_b32_e32 v3, v13, v3
	v_cvt_f32_u32_e32 v3, v3
	v_sub_u32_e32 v1, 32, v1
	v_ldexp_f32 v1, v3, v1
	s_branch .LBB20_1518
.LBB20_1516:
	s_mov_b64 s[0:1], -1
                                        ; implicit-def: $vgpr1
.LBB20_1517:
	s_mov_b64 s[16:17], 0
.LBB20_1518:
	s_and_b64 vcc, exec, s[16:17]
	s_cbranch_vccz .LBB20_1536
; %bb.1519:
	v_cmp_gt_i16_e32 vcc, 27, v9
	s_cbranch_vccnz .LBB20_1522
; %bb.1520:
	v_cmp_lt_i16_e32 vcc, 27, v9
	s_cbranch_vccz .LBB20_1523
; %bb.1521:
	global_load_dword v1, v[6:7], off
	s_mov_b64 s[10:11], 0
	s_waitcnt vmcnt(0)
	v_cvt_f32_u32_e32 v1, v1
	s_branch .LBB20_1524
.LBB20_1522:
	s_mov_b64 s[10:11], -1
                                        ; implicit-def: $vgpr1
	s_branch .LBB20_1527
.LBB20_1523:
	s_mov_b64 s[10:11], -1
                                        ; implicit-def: $vgpr1
.LBB20_1524:
	s_andn2_b64 vcc, exec, s[10:11]
	s_cbranch_vccnz .LBB20_1526
; %bb.1525:
	global_load_ushort v1, v[6:7], off
	s_waitcnt vmcnt(0)
	v_cvt_f32_u32_e32 v1, v1
.LBB20_1526:
	s_mov_b64 s[10:11], 0
.LBB20_1527:
	s_andn2_b64 vcc, exec, s[10:11]
	s_cbranch_vccnz .LBB20_1535
; %bb.1528:
	global_load_ubyte v3, v[6:7], off
	s_movk_i32 s10, 0x7f
                                        ; implicit-def: $sgpr13
	s_waitcnt vmcnt(0)
	v_cmp_lt_i16_e32 vcc, s10, v3
	s_mov_b64 s[10:11], 0
	s_and_saveexec_b64 s[16:17], vcc
	s_xor_b64 s[16:17], exec, s[16:17]
	s_cbranch_execz .LBB20_1549
; %bb.1529:
	s_movk_i32 s10, 0x80
	v_cmp_eq_u16_e32 vcc, s10, v3
	s_mov_b64 s[10:11], -1
                                        ; implicit-def: $sgpr13
	s_and_saveexec_b64 s[18:19], vcc
; %bb.1530:
	s_mov_b32 s13, 0x7f800001
	s_xor_b64 s[10:11], exec, -1
; %bb.1531:
	s_or_b64 exec, exec, s[18:19]
	s_and_b64 s[10:11], s[10:11], exec
	s_or_saveexec_b64 s[16:17], s[16:17]
	v_mov_b32_e32 v1, s13
	s_xor_b64 exec, exec, s[16:17]
	s_cbranch_execnz .LBB20_1550
.LBB20_1532:
	s_or_b64 exec, exec, s[16:17]
	s_and_saveexec_b64 s[16:17], s[10:11]
	s_cbranch_execz .LBB20_1534
.LBB20_1533:
	v_lshlrev_b32_e32 v1, 24, v3
	v_and_b32_e32 v3, 0xffff, v3
	v_and_b32_e32 v5, 7, v3
	v_ffbh_u32_e32 v12, v5
	v_min_u32_e32 v12, 32, v12
	v_subrev_u32_e32 v13, 28, v12
	v_bfe_u32 v11, v3, 3, 4
	v_lshlrev_b32_e32 v3, v13, v3
	v_sub_u32_e32 v12, 29, v12
	v_and_b32_e32 v3, 7, v3
	v_cmp_eq_u32_e32 vcc, 0, v11
	v_cndmask_b32_e32 v11, v11, v12, vcc
	v_cndmask_b32_e32 v3, v5, v3, vcc
	v_mov_b32_e32 v5, 0x3b800000
	v_lshlrev_b32_e32 v3, 20, v3
	v_and_b32_e32 v1, 0x80000000, v1
	v_lshl_add_u32 v5, v11, 23, v5
	v_or3_b32 v1, v1, v5, v3
.LBB20_1534:
	s_or_b64 exec, exec, s[16:17]
.LBB20_1535:
	s_mov_b64 s[10:11], -1
.LBB20_1536:
	s_mov_b64 s[16:17], 0
.LBB20_1537:
	s_and_b64 vcc, exec, s[16:17]
	s_cbranch_vccz .LBB20_1570
; %bb.1538:
	v_cmp_lt_i16_e32 vcc, 22, v9
	s_cbranch_vccz .LBB20_1548
; %bb.1539:
	v_cmp_gt_i16_e32 vcc, 24, v9
	s_cbranch_vccnz .LBB20_1551
; %bb.1540:
	v_cmp_lt_i16_e32 vcc, 24, v9
	s_cbranch_vccz .LBB20_1552
; %bb.1541:
	global_load_ubyte v3, v[6:7], off
	s_movk_i32 s2, 0x7f
                                        ; implicit-def: $sgpr13
	s_waitcnt vmcnt(0)
	v_cmp_lt_i16_e32 vcc, s2, v3
	s_mov_b64 s[2:3], 0
	s_and_saveexec_b64 s[10:11], vcc
	s_xor_b64 s[10:11], exec, s[10:11]
	s_cbranch_execz .LBB20_1564
; %bb.1542:
	s_movk_i32 s2, 0x80
	v_cmp_eq_u16_e32 vcc, s2, v3
	s_mov_b64 s[2:3], -1
                                        ; implicit-def: $sgpr13
	s_and_saveexec_b64 s[16:17], vcc
; %bb.1543:
	s_mov_b32 s13, 0x7f800001
	s_xor_b64 s[2:3], exec, -1
; %bb.1544:
	s_or_b64 exec, exec, s[16:17]
	s_and_b64 s[2:3], s[2:3], exec
	s_or_saveexec_b64 s[10:11], s[10:11]
	v_mov_b32_e32 v1, s13
	s_xor_b64 exec, exec, s[10:11]
	s_cbranch_execnz .LBB20_1565
.LBB20_1545:
	s_or_b64 exec, exec, s[10:11]
	s_and_saveexec_b64 s[10:11], s[2:3]
	s_cbranch_execz .LBB20_1547
.LBB20_1546:
	v_lshlrev_b32_e32 v1, 24, v3
	v_and_b32_e32 v3, 0xffff, v3
	v_and_b32_e32 v5, 3, v3
	v_ffbh_u32_e32 v12, v5
	v_min_u32_e32 v12, 32, v12
	v_subrev_u32_e32 v13, 29, v12
	v_bfe_u32 v11, v3, 2, 5
	v_lshlrev_b32_e32 v3, v13, v3
	v_sub_u32_e32 v12, 30, v12
	v_and_b32_e32 v3, 3, v3
	v_cmp_eq_u32_e32 vcc, 0, v11
	v_cndmask_b32_e32 v11, v11, v12, vcc
	v_cndmask_b32_e32 v3, v5, v3, vcc
	v_mov_b32_e32 v5, 0x37800000
	v_lshlrev_b32_e32 v3, 21, v3
	v_and_b32_e32 v1, 0x80000000, v1
	v_lshl_add_u32 v5, v11, 23, v5
	v_or3_b32 v1, v1, v5, v3
.LBB20_1547:
	s_or_b64 exec, exec, s[10:11]
	s_mov_b64 s[2:3], 0
	s_branch .LBB20_1553
.LBB20_1548:
	s_mov_b64 s[2:3], -1
                                        ; implicit-def: $vgpr1
	s_branch .LBB20_1559
.LBB20_1549:
	s_or_saveexec_b64 s[16:17], s[16:17]
	v_mov_b32_e32 v1, s13
	s_xor_b64 exec, exec, s[16:17]
	s_cbranch_execz .LBB20_1532
.LBB20_1550:
	v_cmp_ne_u16_e32 vcc, 0, v3
	s_andn2_b64 s[10:11], s[10:11], exec
	s_and_b64 s[18:19], vcc, exec
	v_mov_b32_e32 v1, 0
	s_or_b64 s[10:11], s[10:11], s[18:19]
	s_or_b64 exec, exec, s[16:17]
	s_and_saveexec_b64 s[16:17], s[10:11]
	s_cbranch_execnz .LBB20_1533
	s_branch .LBB20_1534
.LBB20_1551:
	s_mov_b64 s[2:3], -1
                                        ; implicit-def: $vgpr1
	s_branch .LBB20_1556
.LBB20_1552:
	s_mov_b64 s[2:3], -1
                                        ; implicit-def: $vgpr1
.LBB20_1553:
	s_and_b64 vcc, exec, s[2:3]
	s_cbranch_vccz .LBB20_1555
; %bb.1554:
	global_load_ubyte v1, v[6:7], off
	s_mov_b32 s2, 0x7f800000
	s_waitcnt vmcnt(0)
	v_lshlrev_b32_e32 v1, 24, v1
	v_and_b32_e32 v3, 0x7f000000, v1
	v_ffbh_u32_e32 v5, v3
	v_min_u32_e32 v5, 32, v5
	v_sub_u32_e64 v5, v5, 4 clamp
	v_lshlrev_b32_e32 v12, v5, v3
	v_lshlrev_b32_e32 v5, 23, v5
	v_lshrrev_b32_e32 v12, 4, v12
	v_add_u32_e32 v11, 0x1000000, v3
	v_sub_u32_e32 v5, v12, v5
	v_ashrrev_i32_e32 v11, 8, v11
	v_add_u32_e32 v5, 0x3c000000, v5
	v_and_or_b32 v5, v11, s2, v5
	v_cmp_ne_u32_e32 vcc, 0, v3
	v_cndmask_b32_e32 v3, 0, v5, vcc
	s_brev_b32 s2, 1
	v_and_or_b32 v1, v1, s2, v3
.LBB20_1555:
	s_mov_b64 s[2:3], 0
.LBB20_1556:
	s_andn2_b64 vcc, exec, s[2:3]
	s_cbranch_vccnz .LBB20_1558
; %bb.1557:
	global_load_ubyte v1, v[6:7], off
	s_movk_i32 s2, 0x7f00
	s_brev_b32 s3, 16
	s_waitcnt vmcnt(0)
	v_lshlrev_b16_e32 v3, 8, v1
	v_lshlrev_b32_e32 v1, 25, v1
	v_lshrrev_b32_e32 v5, 4, v1
	v_and_or_b32 v11, v3, s2, 0.5
	v_or_b32_e32 v5, 0x70000000, v5
	v_add_f32_e32 v11, -0.5, v11
	v_mul_f32_e32 v5, 0x7800000, v5
	v_cmp_gt_u32_e32 vcc, s3, v1
	v_bfe_i32 v3, v3, 0, 16
	v_cndmask_b32_e32 v1, v5, v11, vcc
	s_brev_b32 s2, 1
	v_and_or_b32 v1, v3, s2, v1
.LBB20_1558:
	s_mov_b64 s[2:3], 0
	s_mov_b64 s[10:11], -1
.LBB20_1559:
	s_andn2_b64 vcc, exec, s[2:3]
	s_mov_b64 s[2:3], 0
	s_cbranch_vccnz .LBB20_1570
; %bb.1560:
	v_cmp_lt_i16_e32 vcc, 14, v9
	s_cbranch_vccz .LBB20_1563
; %bb.1561:
	v_cmp_eq_u16_e32 vcc, 15, v9
	s_cbranch_vccz .LBB20_1566
; %bb.1562:
	global_load_ushort v1, v[6:7], off
	s_mov_b64 s[0:1], 0
	s_mov_b64 s[10:11], -1
	s_waitcnt vmcnt(0)
	v_lshlrev_b32_e32 v1, 16, v1
	s_branch .LBB20_1567
.LBB20_1563:
	s_mov_b64 s[16:17], -1
                                        ; implicit-def: $vgpr1
	s_branch .LBB20_1568
.LBB20_1564:
	s_or_saveexec_b64 s[10:11], s[10:11]
	v_mov_b32_e32 v1, s13
	s_xor_b64 exec, exec, s[10:11]
	s_cbranch_execz .LBB20_1545
.LBB20_1565:
	v_cmp_ne_u16_e32 vcc, 0, v3
	s_andn2_b64 s[2:3], s[2:3], exec
	s_and_b64 s[16:17], vcc, exec
	v_mov_b32_e32 v1, 0
	s_or_b64 s[2:3], s[2:3], s[16:17]
	s_or_b64 exec, exec, s[10:11]
	s_and_saveexec_b64 s[10:11], s[2:3]
	s_cbranch_execnz .LBB20_1546
	s_branch .LBB20_1547
.LBB20_1566:
	s_mov_b64 s[0:1], -1
                                        ; implicit-def: $vgpr1
.LBB20_1567:
	s_mov_b64 s[16:17], 0
.LBB20_1568:
	s_and_b64 vcc, exec, s[16:17]
	s_cbranch_vccz .LBB20_1570
; %bb.1569:
	v_cmp_ne_u16_e64 s[0:1], 11, v9
	s_mov_b64 s[2:3], -1
                                        ; implicit-def: $vgpr1
.LBB20_1570:
	s_and_b64 vcc, exec, s[0:1]
	s_cbranch_vccnz .LBB20_1692
; %bb.1571:
	s_andn2_b64 vcc, exec, s[2:3]
	s_cbranch_vccnz .LBB20_1573
.LBB20_1572:
	global_load_ubyte v1, v[6:7], off
	s_mov_b64 s[10:11], -1
	s_waitcnt vmcnt(0)
	v_cmp_ne_u16_e32 vcc, 0, v1
	v_cndmask_b32_e64 v1, 0, 1.0, vcc
.LBB20_1573:
	s_mov_b64 s[0:1], 0
.LBB20_1574:
	s_and_b64 vcc, exec, s[0:1]
	s_cbranch_vccz .LBB20_1623
; %bb.1575:
	v_cmp_gt_i16_e32 vcc, 5, v9
	s_cbranch_vccnz .LBB20_1580
; %bb.1576:
	v_cmp_gt_i16_e32 vcc, 8, v9
	s_cbranch_vccnz .LBB20_1581
	;; [unrolled: 3-line block ×3, first 2 shown]
; %bb.1578:
	v_cmp_lt_i16_e32 vcc, 9, v9
	s_cbranch_vccz .LBB20_1583
; %bb.1579:
	global_load_dwordx2 v[12:13], v[6:7], off
	s_mov_b64 s[0:1], 0
	s_waitcnt vmcnt(0)
	v_cvt_f32_f64_e32 v1, v[12:13]
	s_branch .LBB20_1584
.LBB20_1580:
	s_mov_b64 s[0:1], -1
                                        ; implicit-def: $vgpr1
	s_branch .LBB20_1602
.LBB20_1581:
	s_mov_b64 s[0:1], -1
                                        ; implicit-def: $vgpr1
	s_branch .LBB20_1590
.LBB20_1582:
	s_mov_b64 s[0:1], -1
                                        ; implicit-def: $vgpr1
	s_branch .LBB20_1587
.LBB20_1583:
	s_mov_b64 s[0:1], -1
                                        ; implicit-def: $vgpr1
.LBB20_1584:
	s_andn2_b64 vcc, exec, s[0:1]
	s_cbranch_vccnz .LBB20_1586
; %bb.1585:
	global_load_dword v1, v[6:7], off
.LBB20_1586:
	s_mov_b64 s[0:1], 0
.LBB20_1587:
	s_andn2_b64 vcc, exec, s[0:1]
	s_cbranch_vccnz .LBB20_1589
; %bb.1588:
	global_load_dword v1, v[6:7], off
	s_waitcnt vmcnt(0)
	v_cvt_f32_f16_e32 v1, v1
.LBB20_1589:
	s_mov_b64 s[0:1], 0
.LBB20_1590:
	s_andn2_b64 vcc, exec, s[0:1]
	s_cbranch_vccnz .LBB20_1601
; %bb.1591:
	v_cmp_gt_i16_e32 vcc, 6, v9
	s_cbranch_vccnz .LBB20_1594
; %bb.1592:
	v_cmp_lt_i16_e32 vcc, 6, v9
	s_cbranch_vccz .LBB20_1595
; %bb.1593:
	global_load_dwordx2 v[12:13], v[6:7], off
	s_mov_b64 s[0:1], 0
	s_waitcnt vmcnt(0)
	v_cvt_f32_f64_e32 v1, v[12:13]
	s_branch .LBB20_1596
.LBB20_1594:
	s_mov_b64 s[0:1], -1
                                        ; implicit-def: $vgpr1
	s_branch .LBB20_1599
.LBB20_1595:
	s_mov_b64 s[0:1], -1
                                        ; implicit-def: $vgpr1
.LBB20_1596:
	s_andn2_b64 vcc, exec, s[0:1]
	s_cbranch_vccnz .LBB20_1598
; %bb.1597:
	global_load_dword v1, v[6:7], off
.LBB20_1598:
	s_mov_b64 s[0:1], 0
.LBB20_1599:
	s_andn2_b64 vcc, exec, s[0:1]
	s_cbranch_vccnz .LBB20_1601
; %bb.1600:
	global_load_ushort v1, v[6:7], off
	s_waitcnt vmcnt(0)
	v_cvt_f32_f16_e32 v1, v1
.LBB20_1601:
	s_mov_b64 s[0:1], 0
.LBB20_1602:
	s_andn2_b64 vcc, exec, s[0:1]
	s_cbranch_vccnz .LBB20_1622
; %bb.1603:
	v_cmp_gt_i16_e32 vcc, 2, v9
	s_cbranch_vccnz .LBB20_1607
; %bb.1604:
	v_cmp_gt_i16_e32 vcc, 3, v9
	s_cbranch_vccnz .LBB20_1608
; %bb.1605:
	v_cmp_lt_i16_e32 vcc, 3, v9
	s_cbranch_vccz .LBB20_1609
; %bb.1606:
	global_load_dwordx2 v[12:13], v[6:7], off
	s_mov_b64 s[0:1], 0
	s_waitcnt vmcnt(0)
	v_xor_b32_e32 v3, v12, v13
	v_ffbh_i32_e32 v1, v13
	v_ashrrev_i32_e32 v3, 31, v3
	v_add_u32_e32 v1, -1, v1
	v_add_u32_e32 v3, 32, v3
	v_min_u32_e32 v1, v1, v3
	v_lshlrev_b64 v[12:13], v1, v[12:13]
	v_min_u32_e32 v3, 1, v12
	v_or_b32_e32 v3, v13, v3
	v_cvt_f32_i32_e32 v3, v3
	v_sub_u32_e32 v1, 32, v1
	v_ldexp_f32 v1, v3, v1
	s_branch .LBB20_1610
.LBB20_1607:
	s_mov_b64 s[0:1], -1
                                        ; implicit-def: $vgpr1
	s_branch .LBB20_1616
.LBB20_1608:
	s_mov_b64 s[0:1], -1
                                        ; implicit-def: $vgpr1
	s_branch .LBB20_1613
.LBB20_1609:
	s_mov_b64 s[0:1], -1
                                        ; implicit-def: $vgpr1
.LBB20_1610:
	s_andn2_b64 vcc, exec, s[0:1]
	s_cbranch_vccnz .LBB20_1612
; %bb.1611:
	global_load_dword v1, v[6:7], off
	s_waitcnt vmcnt(0)
	v_cvt_f32_i32_e32 v1, v1
.LBB20_1612:
	s_mov_b64 s[0:1], 0
.LBB20_1613:
	s_andn2_b64 vcc, exec, s[0:1]
	s_cbranch_vccnz .LBB20_1615
; %bb.1614:
	global_load_sshort v1, v[6:7], off
	s_waitcnt vmcnt(0)
	v_cvt_f32_i32_e32 v1, v1
.LBB20_1615:
	s_mov_b64 s[0:1], 0
.LBB20_1616:
	s_andn2_b64 vcc, exec, s[0:1]
	s_cbranch_vccnz .LBB20_1622
; %bb.1617:
	v_cmp_lt_i16_e32 vcc, 0, v9
	s_cbranch_vccz .LBB20_1619
; %bb.1618:
	global_load_sbyte v1, v[6:7], off
	s_mov_b64 s[0:1], 0
	s_waitcnt vmcnt(0)
	v_cvt_f32_i32_e32 v1, v1
	s_branch .LBB20_1620
.LBB20_1619:
	s_mov_b64 s[0:1], -1
                                        ; implicit-def: $vgpr1
.LBB20_1620:
	s_andn2_b64 vcc, exec, s[0:1]
	s_cbranch_vccnz .LBB20_1622
; %bb.1621:
	global_load_ubyte v1, v[6:7], off
	s_waitcnt vmcnt(0)
	v_cvt_f32_ubyte0_e32 v1, v1
.LBB20_1622:
	s_mov_b64 s[10:11], -1
.LBB20_1623:
	s_andn2_b64 vcc, exec, s[10:11]
	s_cbranch_vccnz .LBB20_1643
; %bb.1624:
	s_waitcnt vmcnt(0)
	v_cmp_neq_f32_e32 vcc, 0, v1
	v_mov_b32_e32 v6, 0x7f800000
	s_and_saveexec_b64 s[2:3], vcc
	s_cbranch_execz .LBB20_1636
; %bb.1625:
	v_cmp_ngt_f32_e32 vcc, 0, v1
	v_mov_b32_e32 v6, 0x7fc00000
	s_and_saveexec_b64 s[10:11], vcc
	s_cbranch_execz .LBB20_1635
; %bb.1626:
	v_cmp_ge_f32_e32 vcc, 2.0, v1
                                        ; implicit-def: $vgpr6
	s_and_saveexec_b64 s[0:1], vcc
	s_xor_b64 s[16:17], exec, s[0:1]
	s_cbranch_execz .LBB20_1632
; %bb.1627:
	s_mov_b32 s0, 0x41000000
	v_mul_f32_e32 v3, 0.5, v1
	v_cmp_ge_f32_e32 vcc, s0, v1
                                        ; implicit-def: $vgpr6
                                        ; implicit-def: $vgpr5
	s_and_saveexec_b64 s[0:1], vcc
	s_xor_b64 s[0:1], exec, s[0:1]
	s_cbranch_execz .LBB20_1629
; %bb.1628:
	v_add_f32_e32 v5, -2.0, v3
	v_mov_b32_e32 v6, 0x24199b15
	v_fmac_f32_e32 v6, 0xa2a2e5b9, v5
	v_mov_b32_e32 v7, 0x22a2e5b9
	v_fmac_f32_e32 v7, v5, v6
	v_add_f32_e32 v7, 0xa58c275c, v7
	v_fma_f32 v6, v5, v7, -v6
	v_add_f32_e32 v6, 0x26f736c5, v6
	v_fma_f32 v7, v5, v6, -v7
	v_add_f32_e32 v7, 0xa8528116, v7
	v_fma_f32 v6, v5, v7, -v6
	v_add_f32_e32 v6, 0x29acda32, v6
	v_fma_f32 v7, v5, v6, -v7
	v_add_f32_e32 v7, 0xab08b263, v7
	v_fma_f32 v6, v5, v7, -v6
	v_add_f32_e32 v6, 0x2c4ff17f, v6
	v_fma_f32 v7, v5, v6, -v7
	v_add_f32_e32 v7, 0xad97e4ac, v7
	v_fma_f32 v6, v5, v7, -v6
	v_add_f32_e32 v6, 0x2ed4c5f6, v6
	v_fma_f32 v7, v5, v6, -v7
	v_add_f32_e32 v7, 0xb00ea7f1, v7
	v_fma_f32 v6, v5, v7, -v6
	v_add_f32_e32 v6, 0x3136c81d, v6
	v_fma_f32 v7, v5, v6, -v7
	v_add_f32_e32 v7, 0xb25f57b4, v7
	v_fma_f32 v6, v5, v7, -v6
	v_add_f32_e32 v6, 0x3381dbb5, v6
	v_fma_f32 v7, v5, v6, -v7
	v_add_f32_e32 v7, 0xb48f631c, v7
	v_fma_f32 v6, v5, v7, -v6
	v_add_f32_e32 v6, 0x3595f925, v6
	v_fma_f32 v7, v5, v6, -v7
	v_add_f32_e32 v7, 0xb694337e, v7
	v_fma_f32 v6, v5, v7, -v6
	v_add_f32_e32 v6, 0x3789fac6, v6
	v_fma_f32 v7, v5, v6, -v7
	v_add_f32_e32 v7, 0xb8715933, v7
	v_fma_f32 v6, v5, v7, -v6
	v_add_f32_e32 v6, 0x3945a8dc, v6
	v_fma_f32 v7, v5, v6, -v7
	v_add_f32_e32 v7, 0xba1717e9, v7
	v_fma_f32 v6, v5, v7, -v6
	v_add_f32_e32 v6, 0x3ad6e3ac, v6
	v_fma_f32 v7, v5, v6, -v7
	v_add_f32_e32 v7, 0xbb8db2f1, v7
	v_fma_f32 v6, v5, v7, -v6
	v_add_f32_e32 v6, 0x3c2ccb10, v6
	v_fma_f32 v7, v5, v6, -v7
	v_add_f32_e32 v7, 0xbcc274f8, v7
	v_fma_f32 v6, v5, v7, -v6
	v_mul_f32_e32 v9, 0x3fb8aa3b, v1
	v_add_f32_e32 v6, 0x3d49f456, v6
	s_mov_b32 s13, 0x3fb8aa3b
	v_rndne_f32_e32 v11, v9
	v_fma_f32 v7, v5, v6, -v7
	v_sub_f32_e32 v12, v9, v11
	v_fma_f32 v9, v1, s13, -v9
	v_add_f32_e32 v7, 0xbdc25b82, v7
	v_fmac_f32_e32 v9, 0x32a5705f, v1
	v_fma_f32 v6, v5, v7, -v6
	v_add_f32_e32 v9, v12, v9
	v_add_f32_e32 v6, 0x3e2fbd64, v6
	v_exp_f32_e32 v9, v9
	v_cvt_i32_f32_e32 v11, v11
	v_fma_f32 v7, v5, v6, -v7
	v_add_f32_e32 v7, 0xbe9bff5e, v7
	v_fma_f32 v5, v5, v7, -v6
	s_mov_b32 s13, 0xc2ce8ed0
	v_add_f32_e32 v7, 0x3f2d4275, v5
	v_ldexp_f32 v5, v9, v11
	v_cmp_ngt_f32_e32 vcc, s13, v1
	s_mov_b32 s13, 0x42b17218
	v_cndmask_b32_e32 v5, 0, v5, vcc
	v_mov_b32_e32 v9, 0x7f800000
	v_cmp_nlt_f32_e32 vcc, s13, v1
	v_sub_f32_e32 v6, v7, v6
	v_cndmask_b32_e32 v5, v9, v5, vcc
	v_mul_f32_e32 v6, 0.5, v6
	v_mul_f32_e32 v6, v5, v6
.LBB20_1629:
	s_andn2_saveexec_b64 s[18:19], s[0:1]
	s_cbranch_execz .LBB20_1631
; %bb.1630:
	s_mov_b32 s13, 0x42000000
	v_div_scale_f32 v5, s[0:1], v1, v1, s13
	v_rcp_f32_e32 v6, v5
	v_div_scale_f32 v7, vcc, s13, v1, s13
	s_mov_b32 s0, 0x3fb8aa3b
	v_fma_f32 v9, -v5, v6, 1.0
	v_fmac_f32_e32 v6, v9, v6
	v_mul_f32_e32 v9, v7, v6
	v_fma_f32 v11, -v5, v9, v7
	v_fmac_f32_e32 v9, v11, v6
	v_fma_f32 v5, -v5, v9, v7
	v_div_fmas_f32 v5, v5, v6, v9
	v_div_fixup_f32 v5, v5, v1, s13
	v_add_f32_e32 v5, -2.0, v5
	v_mov_b32_e32 v6, 0xa2b236d3
	v_fmac_f32_e32 v6, 0xa3056dbb, v5
	v_mov_b32_e32 v7, 0x23056dbb
	v_fmac_f32_e32 v7, v5, v6
	v_add_f32_e32 v7, 0x244df0c1, v7
	v_fma_f32 v6, v5, v7, -v6
	v_add_f32_e32 v6, 0x241f9ee8, v6
	v_fma_f32 v7, v5, v6, -v7
	;; [unrolled: 2-line block ×18, first 2 shown]
	v_mul_f32_e32 v9, 0x3fb8aa3b, v1
	v_add_f32_e32 v7, 0x345c003f, v7
	v_rndne_f32_e32 v11, v9
	v_fma_f32 v6, v5, v7, -v6
	v_sub_f32_e32 v12, v9, v11
	v_fma_f32 v9, v1, s0, -v9
	v_add_f32_e32 v6, 0x3642095e, v6
	v_fmac_f32_e32 v9, 0x32a5705f, v1
	v_fma_f32 v7, v5, v6, -v7
	v_add_f32_e32 v9, v12, v9
	v_add_f32_e32 v7, 0x38907d1c, v7
	v_exp_f32_e32 v9, v9
	v_cvt_i32_f32_e32 v11, v11
	v_fma_f32 v6, v5, v7, -v6
	v_add_f32_e32 v6, 0x3b5ccc65, v6
	v_fma_f32 v5, v5, v6, -v7
	s_mov_b32 s0, 0xc2ce8ed0
	v_add_f32_e32 v6, 0x3f4df315, v5
	v_ldexp_f32 v5, v9, v11
	v_cmp_ngt_f32_e32 vcc, s0, v1
	s_mov_b32 s0, 0x42b17218
	v_cndmask_b32_e32 v5, 0, v5, vcc
	v_mov_b32_e32 v9, 0x7f800000
	v_cmp_nlt_f32_e32 vcc, s0, v1
	s_mov_b32 s0, 0xf800000
	v_cndmask_b32_e32 v5, v9, v5, vcc
	v_mul_f32_e32 v9, 0x4f800000, v1
	v_cmp_gt_f32_e32 vcc, s0, v1
	v_cndmask_b32_e32 v9, v1, v9, vcc
	v_sqrt_f32_e32 v11, v9
	v_sub_f32_e32 v6, v6, v7
	v_mul_f32_e32 v6, 0.5, v6
	v_mul_f32_e32 v6, v5, v6
	v_add_u32_e32 v7, -1, v11
	v_fma_f32 v12, -v7, v11, v9
	v_cmp_ge_f32_e64 s[0:1], 0, v12
	v_add_u32_e32 v12, 1, v11
	v_cndmask_b32_e64 v7, v11, v7, s[0:1]
	v_fma_f32 v11, -v12, v11, v9
	v_cmp_lt_f32_e64 s[0:1], 0, v11
	v_cndmask_b32_e64 v7, v7, v12, s[0:1]
	v_mul_f32_e32 v11, 0x37800000, v7
	v_cndmask_b32_e32 v7, v7, v11, vcc
	v_mov_b32_e32 v11, 0x260
	v_cmp_class_f32_e32 vcc, v9, v11
	v_cndmask_b32_e32 v7, v7, v9, vcc
	v_div_scale_f32 v9, s[0:1], v7, v7, v6
	v_rcp_f32_e32 v11, v9
	v_fma_f32 v12, -v9, v11, 1.0
	v_fmac_f32_e32 v11, v12, v11
	v_div_scale_f32 v12, vcc, v6, v7, v6
	v_mul_f32_e32 v13, v12, v11
	v_fma_f32 v14, -v9, v13, v12
	v_fmac_f32_e32 v13, v14, v11
	v_fma_f32 v9, -v9, v13, v12
	v_div_fmas_f32 v9, v9, v11, v13
	v_div_fixup_f32 v6, v9, v7, v6
.LBB20_1631:
	s_or_b64 exec, exec, s[18:19]
	v_fma_f32 v1, v1, v1, -2.0
	v_mov_b32_e32 v7, 0x293fd856
	v_fmac_f32_e32 v7, 0x251e770f, v1
	v_mov_b32_e32 v9, 0xa51e770f
	v_fmac_f32_e32 v9, v1, v7
	v_add_f32_e32 v9, 0x2d3612e2, v9
	v_fma_f32 v7, v1, v9, -v7
	v_add_f32_e32 v7, 0x3102e09b, v7
	v_fma_f32 v9, v1, v7, -v9
	;; [unrolled: 2-line block ×6, first 2 shown]
	v_add_f32_e32 v9, 0x3eb046c4, v9
	s_mov_b32 s0, 0x800000
	v_fma_f32 v1, v1, v9, -v7
	v_mov_b32_e32 v9, 0x4f800000
	v_cmp_gt_f32_e32 vcc, s0, v3
	v_cndmask_b32_e32 v9, 1.0, v9, vcc
	v_mul_f32_e32 v3, v3, v9
	v_log_f32_e32 v3, v3
	v_add_f32_e32 v1, 0xbf090b37, v1
	v_sub_f32_e32 v1, v1, v7
	s_mov_b32 s0, 0x3f317217
	v_mul_f32_e32 v7, 0x3f317217, v3
	v_fma_f32 v9, v3, s0, -v7
	v_fmac_f32_e32 v9, 0x3377d1cf, v3
	s_mov_b32 s0, 0x7f800000
	v_add_f32_e32 v7, v7, v9
	v_cmp_lt_f32_e64 s[0:1], |v3|, s0
	v_cndmask_b32_e64 v3, v3, v7, s[0:1]
	v_mov_b32_e32 v7, 0x41b17218
	v_cndmask_b32_e32 v7, 0, v7, vcc
	v_sub_f32_e32 v3, v3, v7
	v_mul_f32_e32 v3, v3, v6
	v_fma_f32 v1, v1, 0.5, -v3
	v_mul_f32_e32 v6, v5, v1
                                        ; implicit-def: $vgpr1
.LBB20_1632:
	s_andn2_saveexec_b64 s[16:17], s[16:17]
	s_cbranch_execz .LBB20_1634
; %bb.1633:
	s_mov_b32 s13, 0x41000000
	v_div_scale_f32 v3, s[0:1], v1, v1, s13
	v_rcp_f32_e32 v5, v3
	v_div_scale_f32 v6, vcc, s13, v1, s13
	s_mov_b32 s0, 0xf800000
	v_fma_f32 v7, -v3, v5, 1.0
	v_fmac_f32_e32 v5, v7, v5
	v_mul_f32_e32 v7, v6, v5
	v_fma_f32 v9, -v3, v7, v6
	v_fmac_f32_e32 v7, v9, v5
	v_fma_f32 v3, -v3, v7, v6
	v_div_fmas_f32 v3, v3, v5, v7
	v_div_fixup_f32 v3, v3, v1, s13
	v_add_f32_e32 v3, -2.0, v3
	v_mov_b32_e32 v5, 0xa397f665
	v_fmac_f32_e32 v5, 0x22c38d2e, v3
	v_mov_b32_e32 v6, 0xa2c38d2e
	v_fmac_f32_e32 v6, v3, v5
	v_add_f32_e32 v6, 0x24704972, v6
	v_fma_f32 v5, v3, v6, -v5
	v_add_f32_e32 v5, 0xa5417ca4, v5
	v_fma_f32 v6, v3, v5, -v6
	;; [unrolled: 2-line block ×22, first 2 shown]
	v_mul_f32_e32 v5, 0x4f800000, v1
	v_cmp_gt_f32_e32 vcc, s0, v1
	v_cndmask_b32_e32 v1, v1, v5, vcc
	v_sqrt_f32_e32 v5, v1
	v_add_f32_e32 v3, 0x401c2ded, v3
	v_sub_f32_e32 v3, v3, v6
	v_mul_f32_e32 v3, 0.5, v3
	v_add_u32_e32 v6, -1, v5
	v_fma_f32 v7, -v6, v5, v1
	v_cmp_ge_f32_e64 s[0:1], 0, v7
	v_add_u32_e32 v7, 1, v5
	v_cndmask_b32_e64 v6, v5, v6, s[0:1]
	v_fma_f32 v5, -v7, v5, v1
	v_cmp_lt_f32_e64 s[0:1], 0, v5
	v_cndmask_b32_e64 v5, v6, v7, s[0:1]
	v_mul_f32_e32 v6, 0x37800000, v5
	v_cndmask_b32_e32 v5, v5, v6, vcc
	v_mov_b32_e32 v6, 0x260
	v_cmp_class_f32_e32 vcc, v1, v6
	v_cndmask_b32_e32 v1, v5, v1, vcc
	v_div_scale_f32 v5, s[0:1], v1, v1, v3
	v_rcp_f32_e32 v6, v5
	v_fma_f32 v7, -v5, v6, 1.0
	v_fmac_f32_e32 v6, v7, v6
	v_div_scale_f32 v7, vcc, v3, v1, v3
	v_mul_f32_e32 v9, v7, v6
	v_fma_f32 v11, -v5, v9, v7
	v_fmac_f32_e32 v9, v11, v6
	v_fma_f32 v5, -v5, v9, v7
	v_div_fmas_f32 v5, v5, v6, v9
	v_div_fixup_f32 v6, v5, v1, v3
.LBB20_1634:
	s_or_b64 exec, exec, s[16:17]
.LBB20_1635:
	s_or_b64 exec, exec, s[10:11]
.LBB20_1636:
	s_or_b64 exec, exec, s[2:3]
	v_mul_lo_u32 v3, s12, v8
	v_ashrrev_i32_e32 v1, 31, v3
	v_mov_b32_e32 v5, s9
	v_add_co_u32_e32 v8, vcc, s8, v3
	v_addc_co_u32_e32 v9, vcc, v5, v1, vcc
	v_mov_b32_e32 v1, 11
	v_cmp_lt_i16_sdwa s[0:1], v10, v1 src0_sel:BYTE_0 src1_sel:DWORD
	s_and_b64 vcc, exec, s[0:1]
	s_cbranch_vccnz .LBB20_1689
; %bb.1637:
	v_mov_b32_e32 v1, 25
	v_cmp_gt_i16_sdwa s[0:1], v10, v1 src0_sel:BYTE_0 src1_sel:DWORD
	s_mov_b64 s[16:17], -1
	s_mov_b64 s[2:3], 0
	s_and_b64 vcc, exec, s[0:1]
	s_mov_b64 s[10:11], 0
	s_mov_b64 s[0:1], 0
	s_cbranch_vccz .LBB20_1721
; %bb.1638:
	v_mov_b32_e32 v1, 28
	v_cmp_gt_i16_sdwa s[0:1], v10, v1 src0_sel:BYTE_0 src1_sel:DWORD
	s_and_b64 vcc, exec, s[0:1]
	s_cbranch_vccz .LBB20_1690
; %bb.1639:
	v_mov_b32_e32 v1, 43
	v_cmp_gt_i16_sdwa s[0:1], v10, v1 src0_sel:BYTE_0 src1_sel:DWORD
	s_and_b64 vcc, exec, s[0:1]
	;; [unrolled: 5-line block ×3, first 2 shown]
	s_cbranch_vccz .LBB20_1693
; %bb.1641:
	v_mov_b32_e32 v1, 46
	v_cmp_eq_u16_sdwa s[10:11], v10, v1 src0_sel:BYTE_0 src1_sel:DWORD
	s_mov_b64 s[0:1], -1
	s_mov_b64 s[16:17], 0
	s_and_b64 vcc, exec, s[10:11]
	s_mov_b64 s[10:11], 0
	s_cbranch_vccz .LBB20_1694
; %bb.1642:
	v_bfe_u32 v1, v0, 16, 1
	s_movk_i32 s0, 0x7fff
	v_add3_u32 v1, v0, v1, s0
	v_lshrrev_b32_e32 v1, 16, v1
	v_mov_b32_e32 v5, 0x7fc0
	v_cmp_o_f32_e32 vcc, v0, v0
	v_cndmask_b32_e32 v1, v5, v1, vcc
	global_store_dword v[8:9], v1, off
	s_mov_b64 s[0:1], 0
	s_mov_b64 s[10:11], -1
	s_branch .LBB20_1694
.LBB20_1643:
	s_mov_b64 s[0:1], 0
                                        ; implicit-def: $vgpr2
                                        ; implicit-def: $vgpr0_vgpr1
                                        ; implicit-def: $vgpr6
.LBB20_1644:
	s_mov_b64 s[2:3], 0
.LBB20_1645:
	s_andn2_b64 s[6:7], s[6:7], exec
	s_and_b64 s[8:9], s[14:15], exec
	s_and_b64 s[0:1], s[0:1], exec
	;; [unrolled: 1-line block ×3, first 2 shown]
	s_or_b64 s[6:7], s[6:7], s[8:9]
.LBB20_1646:
	s_or_b64 exec, exec, s[4:5]
	s_and_saveexec_b64 s[4:5], s[6:7]
	s_cbranch_execz .LBB20_1649
; %bb.1647:
	; divergent unreachable
	s_or_b64 exec, exec, s[4:5]
	s_and_saveexec_b64 s[4:5], s[2:3]
	s_xor_b64 s[2:3], exec, s[4:5]
	s_cbranch_execnz .LBB20_1650
.LBB20_1648:
	s_or_b64 exec, exec, s[2:3]
	s_and_saveexec_b64 s[2:3], s[0:1]
	s_cbranch_execnz .LBB20_1651
	s_branch .LBB20_1688
.LBB20_1649:
	s_or_b64 exec, exec, s[4:5]
	s_and_saveexec_b64 s[4:5], s[2:3]
	s_xor_b64 s[2:3], exec, s[4:5]
	s_cbranch_execz .LBB20_1648
.LBB20_1650:
	v_cmp_neq_f32_e32 vcc, 0, v6
	s_waitcnt vmcnt(0)
	v_cndmask_b32_e64 v3, 0, 1, vcc
	global_store_byte v[0:1], v3, off
	s_or_b64 exec, exec, s[2:3]
	s_and_saveexec_b64 s[2:3], s[0:1]
	s_cbranch_execz .LBB20_1688
.LBB20_1651:
	s_waitcnt vmcnt(0)
	v_cmp_gt_i16_e32 vcc, 5, v2
	s_mov_b64 s[0:1], -1
	s_cbranch_vccnz .LBB20_1672
; %bb.1652:
	v_cmp_gt_i16_e32 vcc, 8, v2
	s_cbranch_vccnz .LBB20_1662
; %bb.1653:
	v_cmp_gt_i16_e32 vcc, 9, v2
	s_cbranch_vccnz .LBB20_1659
; %bb.1654:
	v_cmp_lt_i16_e32 vcc, 9, v2
	s_cbranch_vccz .LBB20_1656
; %bb.1655:
	v_mov_b32_e32 v10, 0
	v_cvt_f64_f32_e32 v[8:9], v6
	v_mov_b32_e32 v11, v10
	global_store_dwordx4 v[0:1], v[8:11], off
	s_mov_b64 s[0:1], 0
.LBB20_1656:
	s_andn2_b64 vcc, exec, s[0:1]
	s_cbranch_vccnz .LBB20_1658
; %bb.1657:
	v_mov_b32_e32 v7, 0
	global_store_dwordx2 v[0:1], v[6:7], off
.LBB20_1658:
	s_mov_b64 s[0:1], 0
.LBB20_1659:
	s_andn2_b64 vcc, exec, s[0:1]
	s_cbranch_vccnz .LBB20_1661
; %bb.1660:
	v_cvt_f16_f32_e32 v3, v6
	global_store_dword v[0:1], v3, off
.LBB20_1661:
	s_mov_b64 s[0:1], 0
.LBB20_1662:
	s_andn2_b64 vcc, exec, s[0:1]
	s_cbranch_vccnz .LBB20_1671
; %bb.1663:
	v_cmp_gt_i16_e32 vcc, 6, v2
	s_mov_b64 s[0:1], -1
	s_cbranch_vccnz .LBB20_1669
; %bb.1664:
	v_cmp_lt_i16_e32 vcc, 6, v2
	s_cbranch_vccz .LBB20_1666
; %bb.1665:
	v_cvt_f64_f32_e32 v[4:5], v6
	global_store_dwordx2 v[0:1], v[4:5], off
	s_mov_b64 s[0:1], 0
.LBB20_1666:
	s_andn2_b64 vcc, exec, s[0:1]
	s_cbranch_vccnz .LBB20_1668
; %bb.1667:
	global_store_dword v[0:1], v6, off
.LBB20_1668:
	s_mov_b64 s[0:1], 0
.LBB20_1669:
	s_andn2_b64 vcc, exec, s[0:1]
	s_cbranch_vccnz .LBB20_1671
; %bb.1670:
	v_cvt_f16_f32_e32 v3, v6
	global_store_short v[0:1], v3, off
.LBB20_1671:
	s_mov_b64 s[0:1], 0
.LBB20_1672:
	s_andn2_b64 vcc, exec, s[0:1]
	s_cbranch_vccnz .LBB20_1688
; %bb.1673:
	v_cmp_gt_i16_e32 vcc, 2, v2
	s_mov_b64 s[0:1], -1
	s_cbranch_vccnz .LBB20_1683
; %bb.1674:
	v_cmp_gt_i16_e32 vcc, 3, v2
	s_cbranch_vccnz .LBB20_1680
; %bb.1675:
	v_cmp_lt_i16_e32 vcc, 3, v2
	s_cbranch_vccz .LBB20_1677
; %bb.1676:
	v_trunc_f32_e32 v3, v6
	s_mov_b32 s0, 0x2f800000
	v_mul_f32_e64 v4, |v3|, s0
	v_floor_f32_e32 v4, v4
	s_mov_b32 s0, 0xcf800000
	v_cvt_u32_f32_e32 v5, v4
	v_fma_f32 v4, v4, s0, |v3|
	v_cvt_u32_f32_e32 v4, v4
	v_ashrrev_i32_e32 v3, 31, v3
	v_xor_b32_e32 v5, v5, v3
	s_mov_b64 s[0:1], 0
	v_xor_b32_e32 v4, v4, v3
	v_sub_co_u32_e32 v4, vcc, v4, v3
	v_subb_co_u32_e32 v5, vcc, v5, v3, vcc
	global_store_dwordx2 v[0:1], v[4:5], off
.LBB20_1677:
	s_andn2_b64 vcc, exec, s[0:1]
	s_cbranch_vccnz .LBB20_1679
; %bb.1678:
	v_cvt_i32_f32_e32 v3, v6
	global_store_dword v[0:1], v3, off
.LBB20_1679:
	s_mov_b64 s[0:1], 0
.LBB20_1680:
	s_andn2_b64 vcc, exec, s[0:1]
	s_cbranch_vccnz .LBB20_1682
; %bb.1681:
	v_cvt_i32_f32_e32 v3, v6
	global_store_short v[0:1], v3, off
.LBB20_1682:
	s_mov_b64 s[0:1], 0
.LBB20_1683:
	s_andn2_b64 vcc, exec, s[0:1]
	s_cbranch_vccnz .LBB20_1688
; %bb.1684:
	v_cmp_lt_i16_e32 vcc, 0, v2
	s_mov_b64 s[0:1], -1
	s_cbranch_vccz .LBB20_1686
; %bb.1685:
	v_cvt_i32_f32_e32 v2, v6
	s_mov_b64 s[0:1], 0
	global_store_byte v[0:1], v2, off
.LBB20_1686:
	s_andn2_b64 vcc, exec, s[0:1]
	s_cbranch_vccnz .LBB20_1688
; %bb.1687:
	v_trunc_f32_e32 v2, v6
	s_mov_b32 s0, 0x2f800000
	v_mul_f32_e64 v3, |v2|, s0
	v_floor_f32_e32 v3, v3
	s_mov_b32 s0, 0xcf800000
	v_fma_f32 v3, v3, s0, |v2|
	v_cvt_u32_f32_e32 v3, v3
	v_ashrrev_i32_e32 v2, 31, v2
	v_xor_b32_e32 v3, v3, v2
	v_sub_u32_e32 v2, v3, v2
	global_store_byte v[0:1], v2, off
	s_endpgm
.LBB20_1688:
	s_endpgm
.LBB20_1689:
	s_mov_b64 s[0:1], -1
	s_mov_b64 s[10:11], 0
	s_branch .LBB20_1765
.LBB20_1690:
	s_mov_b64 s[0:1], 0
	s_branch .LBB20_1704
.LBB20_1691:
	s_mov_b64 s[0:1], 0
	s_branch .LBB20_1700
.LBB20_1692:
	s_trap 2
	s_or_b64 s[14:15], s[14:15], exec
                                        ; implicit-def: $vgpr1
	s_cbranch_execz .LBB20_1572
	s_branch .LBB20_1573
.LBB20_1693:
	s_mov_b64 s[0:1], 0
.LBB20_1694:
	s_and_b64 vcc, exec, s[16:17]
	s_cbranch_vccz .LBB20_1699
; %bb.1695:
	v_mov_b32_e32 v1, 44
	v_cmp_eq_u16_sdwa s[16:17], v10, v1 src0_sel:BYTE_0 src1_sel:DWORD
	s_mov_b64 s[0:1], -1
	s_and_b64 vcc, exec, s[16:17]
	s_cbranch_vccz .LBB20_1699
; %bb.1696:
	v_bfe_u32 v1, v0, 23, 8
	s_movk_i32 s0, 0xff
	v_cmp_ne_u32_e32 vcc, s0, v1
	v_mov_b32_e32 v5, 0xff
	s_and_saveexec_b64 s[10:11], vcc
; %bb.1697:
	s_mov_b32 s0, 0x3fffff
	v_and_b32_e32 v7, 0x400000, v0
	v_and_or_b32 v1, v0, s0, v1
	v_cmp_ne_u32_e32 vcc, 0, v7
	v_cmp_ne_u32_e64 s[0:1], 0, v1
	s_and_b64 s[0:1], vcc, s[0:1]
	v_lshrrev_b32_e32 v5, 23, v0
	v_cndmask_b32_e64 v1, 0, 1, s[0:1]
	v_add_u32_e32 v5, v5, v1
; %bb.1698:
	s_or_b64 exec, exec, s[10:11]
	s_mov_b64 s[0:1], 0
	s_mov_b64 s[10:11], -1
	global_store_byte v[8:9], v5, off
.LBB20_1699:
	s_mov_b64 s[16:17], 0
.LBB20_1700:
	s_and_b64 vcc, exec, s[16:17]
	s_cbranch_vccz .LBB20_1703
; %bb.1701:
	v_mov_b32_e32 v1, 29
	v_cmp_eq_u16_sdwa s[16:17], v10, v1 src0_sel:BYTE_0 src1_sel:DWORD
	s_mov_b64 s[0:1], -1
	s_and_b64 vcc, exec, s[16:17]
	s_cbranch_vccz .LBB20_1703
; %bb.1702:
	v_trunc_f32_e32 v1, v0
	v_mul_f32_e32 v5, 0x2f800000, v1
	v_floor_f32_e32 v5, v5
	v_fmac_f32_e32 v1, 0xcf800000, v5
	v_cvt_u32_f32_e32 v13, v5
	v_cvt_u32_f32_e32 v12, v1
	s_mov_b64 s[0:1], 0
	s_mov_b64 s[10:11], -1
	s_mov_b64 s[16:17], 0
	global_store_dwordx2 v[8:9], v[12:13], off
	s_branch .LBB20_1704
.LBB20_1703:
	s_mov_b64 s[16:17], 0
.LBB20_1704:
	s_and_b64 vcc, exec, s[16:17]
	s_cbranch_vccz .LBB20_1720
; %bb.1705:
	v_mov_b32_e32 v1, 27
	v_cmp_lt_i16_sdwa s[16:17], v10, v1 src0_sel:BYTE_0 src1_sel:DWORD
	s_mov_b64 s[10:11], -1
	s_and_b64 vcc, exec, s[16:17]
	s_cbranch_vccnz .LBB20_1711
; %bb.1706:
	v_cmp_gt_i16_sdwa s[16:17], v10, v1 src0_sel:BYTE_0 src1_sel:DWORD
	v_cvt_u32_f32_e32 v1, v0
	s_and_b64 vcc, exec, s[16:17]
	s_cbranch_vccz .LBB20_1708
; %bb.1707:
	s_mov_b64 s[10:11], 0
	global_store_dword v[8:9], v1, off
.LBB20_1708:
	s_andn2_b64 vcc, exec, s[10:11]
	s_cbranch_vccnz .LBB20_1710
; %bb.1709:
	global_store_short v[8:9], v1, off
.LBB20_1710:
	s_mov_b64 s[10:11], 0
.LBB20_1711:
	s_andn2_b64 vcc, exec, s[10:11]
	s_cbranch_vccnz .LBB20_1719
; %bb.1712:
	v_and_b32_e32 v1, 0x7fffffff, v0
	s_mov_b32 s10, 0x43800000
	v_cmp_gt_u32_e32 vcc, s10, v1
	v_mov_b32_e32 v5, 0x80
	s_and_saveexec_b64 s[10:11], vcc
	s_cbranch_execz .LBB20_1718
; %bb.1713:
	s_mov_b32 s13, 0x3bffffff
	v_cmp_lt_u32_e32 vcc, s13, v1
	s_mov_b64 s[16:17], 0
                                        ; implicit-def: $vgpr1
	s_and_saveexec_b64 s[18:19], vcc
	s_xor_b64 s[18:19], exec, s[18:19]
	s_cbranch_execz .LBB20_1814
; %bb.1714:
	v_bfe_u32 v1, v0, 20, 1
	s_mov_b32 s13, 0x487ffff
	v_add3_u32 v1, v0, v1, s13
	s_mov_b64 s[16:17], exec
	v_lshrrev_b32_e32 v1, 20, v1
	s_or_saveexec_b64 s[18:19], s[18:19]
                                        ; implicit-def: $sgpr13
	s_xor_b64 exec, exec, s[18:19]
	s_cbranch_execnz .LBB20_1815
.LBB20_1715:
	s_or_b64 exec, exec, s[18:19]
	v_mov_b32_e32 v5, s13
	s_and_saveexec_b64 s[18:19], s[16:17]
.LBB20_1716:
	v_lshrrev_b32_e32 v5, 24, v0
	s_movk_i32 s13, 0x80
	v_and_or_b32 v5, v5, s13, v1
.LBB20_1717:
	s_or_b64 exec, exec, s[18:19]
.LBB20_1718:
	s_or_b64 exec, exec, s[10:11]
	global_store_byte v[8:9], v5, off
.LBB20_1719:
	s_mov_b64 s[10:11], -1
.LBB20_1720:
	s_mov_b64 s[16:17], 0
.LBB20_1721:
	s_and_b64 vcc, exec, s[16:17]
	s_cbranch_vccz .LBB20_1761
; %bb.1722:
	v_mov_b32_e32 v1, 22
	v_cmp_gt_i16_sdwa s[16:17], v10, v1 src0_sel:BYTE_0 src1_sel:DWORD
	s_mov_b64 s[2:3], -1
	s_and_b64 vcc, exec, s[16:17]
	s_cbranch_vccz .LBB20_1754
; %bb.1723:
	v_mov_b32_e32 v1, 24
	v_cmp_lt_i16_sdwa s[10:11], v10, v1 src0_sel:BYTE_0 src1_sel:DWORD
	s_and_b64 vcc, exec, s[10:11]
	s_cbranch_vccnz .LBB20_1743
; %bb.1724:
	v_cmp_gt_i16_sdwa s[10:11], v10, v1 src0_sel:BYTE_0 src1_sel:DWORD
	s_and_b64 vcc, exec, s[10:11]
	s_cbranch_vccz .LBB20_1732
; %bb.1725:
	v_and_b32_e32 v1, 0x7fffffff, v0
	s_mov_b32 s2, 0x47800000
	v_cmp_gt_u32_e32 vcc, s2, v1
	v_mov_b32_e32 v5, 0x80
	s_and_saveexec_b64 s[2:3], vcc
	s_cbranch_execz .LBB20_1731
; %bb.1726:
	s_mov_b32 s10, 0x37ffffff
	v_cmp_lt_u32_e32 vcc, s10, v1
	s_mov_b64 s[10:11], 0
                                        ; implicit-def: $vgpr1
	s_and_saveexec_b64 s[16:17], vcc
	s_xor_b64 s[16:17], exec, s[16:17]
	s_cbranch_execz .LBB20_1818
; %bb.1727:
	v_bfe_u32 v1, v0, 21, 1
	s_mov_b32 s13, 0x88fffff
	v_add3_u32 v1, v0, v1, s13
	s_mov_b64 s[10:11], exec
	v_lshrrev_b32_e32 v1, 21, v1
	s_or_saveexec_b64 s[16:17], s[16:17]
                                        ; implicit-def: $sgpr13
	s_xor_b64 exec, exec, s[16:17]
	s_cbranch_execnz .LBB20_1819
.LBB20_1728:
	s_or_b64 exec, exec, s[16:17]
	v_mov_b32_e32 v5, s13
	s_and_saveexec_b64 s[16:17], s[10:11]
.LBB20_1729:
	v_lshrrev_b32_e32 v5, 24, v0
	s_movk_i32 s10, 0x80
	v_and_or_b32 v5, v5, s10, v1
.LBB20_1730:
	s_or_b64 exec, exec, s[16:17]
.LBB20_1731:
	s_or_b64 exec, exec, s[2:3]
	s_mov_b64 s[2:3], 0
	global_store_byte v[8:9], v5, off
.LBB20_1732:
	s_and_b64 vcc, exec, s[2:3]
	s_cbranch_vccz .LBB20_1742
; %bb.1733:
	v_and_b32_e32 v5, 0x7fffffff, v0
	s_mov_b32 s2, 0x43f00000
	v_cmp_gt_u32_e32 vcc, s2, v5
                                        ; implicit-def: $vgpr1
	s_and_saveexec_b64 s[2:3], vcc
	s_xor_b64 s[2:3], exec, s[2:3]
	s_cbranch_execz .LBB20_1739
; %bb.1734:
	s_mov_b32 s10, 0x3c7fffff
	v_cmp_lt_u32_e32 vcc, s10, v5
                                        ; implicit-def: $vgpr1
	s_and_saveexec_b64 s[10:11], vcc
	s_xor_b64 s[10:11], exec, s[10:11]
; %bb.1735:
	v_bfe_u32 v1, v0, 20, 1
	s_mov_b32 s13, 0x407ffff
	v_add3_u32 v1, v0, v1, s13
	v_lshrrev_b32_e32 v5, 20, v1
	v_and_b32_e32 v1, 0xff00000, v1
	s_mov_b32 s13, 0x7f00000
	v_mov_b32_e32 v7, 0x7e
	v_cmp_ne_u32_e32 vcc, s13, v1
	v_cndmask_b32_e32 v1, v7, v5, vcc
; %bb.1736:
	s_andn2_saveexec_b64 s[10:11], s[10:11]
; %bb.1737:
	s_mov_b32 s13, 0x46800000
	v_add_f32_e64 v1, |v0|, s13
; %bb.1738:
	s_or_b64 exec, exec, s[10:11]
                                        ; implicit-def: $vgpr5
.LBB20_1739:
	s_andn2_saveexec_b64 s[2:3], s[2:3]
; %bb.1740:
	s_mov_b32 s10, 0x7f800000
	v_mov_b32_e32 v1, 0x7e
	v_mov_b32_e32 v7, 0x7f
	v_cmp_lt_u32_e32 vcc, s10, v5
	v_cndmask_b32_e32 v1, v1, v7, vcc
; %bb.1741:
	s_or_b64 exec, exec, s[2:3]
	v_lshrrev_b32_e32 v5, 24, v0
	s_movk_i32 s2, 0x80
	v_and_or_b32 v1, v5, s2, v1
	global_store_byte v[8:9], v1, off
.LBB20_1742:
	s_mov_b64 s[2:3], 0
.LBB20_1743:
	s_andn2_b64 vcc, exec, s[2:3]
	s_cbranch_vccnz .LBB20_1753
; %bb.1744:
	v_and_b32_e32 v5, 0x7fffffff, v0
	s_mov_b32 s2, 0x47800000
	v_cmp_gt_u32_e32 vcc, s2, v5
                                        ; implicit-def: $vgpr1
	s_and_saveexec_b64 s[2:3], vcc
	s_xor_b64 s[2:3], exec, s[2:3]
	s_cbranch_execz .LBB20_1750
; %bb.1745:
	s_mov_b32 s10, 0x387fffff
	v_cmp_lt_u32_e32 vcc, s10, v5
                                        ; implicit-def: $vgpr1
	s_and_saveexec_b64 s[10:11], vcc
	s_xor_b64 s[10:11], exec, s[10:11]
; %bb.1746:
	v_bfe_u32 v1, v0, 21, 1
	s_mov_b32 s13, 0x80fffff
	v_add3_u32 v1, v0, v1, s13
	v_lshrrev_b32_e32 v1, 21, v1
; %bb.1747:
	s_andn2_saveexec_b64 s[10:11], s[10:11]
; %bb.1748:
	s_mov_b32 s13, 0x43000000
	v_add_f32_e64 v1, |v0|, s13
; %bb.1749:
	s_or_b64 exec, exec, s[10:11]
                                        ; implicit-def: $vgpr5
.LBB20_1750:
	s_andn2_saveexec_b64 s[2:3], s[2:3]
; %bb.1751:
	s_mov_b32 s10, 0x7f800000
	v_mov_b32_e32 v1, 0x7c
	v_mov_b32_e32 v7, 0x7f
	v_cmp_lt_u32_e32 vcc, s10, v5
	v_cndmask_b32_e32 v1, v1, v7, vcc
; %bb.1752:
	s_or_b64 exec, exec, s[2:3]
	v_lshrrev_b32_e32 v5, 24, v0
	s_movk_i32 s2, 0x80
	v_and_or_b32 v1, v5, s2, v1
	global_store_byte v[8:9], v1, off
.LBB20_1753:
	s_mov_b64 s[2:3], 0
	s_mov_b64 s[10:11], -1
.LBB20_1754:
	s_andn2_b64 vcc, exec, s[2:3]
	s_mov_b64 s[2:3], 0
	s_cbranch_vccnz .LBB20_1761
; %bb.1755:
	v_mov_b32_e32 v1, 14
	v_cmp_gt_i16_sdwa s[2:3], v10, v1 src0_sel:BYTE_0 src1_sel:DWORD
	s_mov_b64 s[16:17], -1
	s_and_b64 vcc, exec, s[2:3]
	s_cbranch_vccz .LBB20_1759
; %bb.1756:
	v_mov_b32_e32 v1, 15
	v_cmp_eq_u16_sdwa s[2:3], v10, v1 src0_sel:BYTE_0 src1_sel:DWORD
	s_mov_b64 s[0:1], -1
	s_and_b64 vcc, exec, s[2:3]
	s_cbranch_vccz .LBB20_1758
; %bb.1757:
	v_bfe_u32 v1, v0, 16, 1
	s_movk_i32 s0, 0x7fff
	v_add3_u32 v1, v0, v1, s0
	v_lshrrev_b32_e32 v1, 16, v1
	v_mov_b32_e32 v5, 0x7fc0
	v_cmp_o_f32_e32 vcc, v0, v0
	v_cndmask_b32_e32 v1, v5, v1, vcc
	global_store_short v[8:9], v1, off
	s_mov_b64 s[0:1], 0
	s_mov_b64 s[10:11], -1
.LBB20_1758:
	s_mov_b64 s[16:17], 0
.LBB20_1759:
	s_mov_b64 s[2:3], 0
	s_and_b64 vcc, exec, s[16:17]
	s_cbranch_vccz .LBB20_1761
; %bb.1760:
	v_mov_b32_e32 v1, 11
	v_cmp_ne_u16_sdwa s[0:1], v10, v1 src0_sel:BYTE_0 src1_sel:DWORD
	s_mov_b64 s[2:3], -1
.LBB20_1761:
	s_and_b64 vcc, exec, s[0:1]
	s_cbranch_vccnz .LBB20_1817
; %bb.1762:
	s_andn2_b64 vcc, exec, s[2:3]
	s_cbranch_vccnz .LBB20_1764
.LBB20_1763:
	v_cmp_neq_f32_e32 vcc, 0, v0
	v_cndmask_b32_e64 v1, 0, 1, vcc
	s_mov_b64 s[10:11], -1
	global_store_byte v[8:9], v1, off
.LBB20_1764:
	s_mov_b64 s[0:1], 0
.LBB20_1765:
	s_and_b64 vcc, exec, s[0:1]
	s_cbranch_vccz .LBB20_1804
; %bb.1766:
	v_mov_b32_e32 v1, 5
	v_cmp_lt_i16_sdwa s[2:3], v10, v1 src0_sel:BYTE_0 src1_sel:DWORD
	s_mov_b64 s[0:1], -1
	s_and_b64 vcc, exec, s[2:3]
	s_cbranch_vccnz .LBB20_1787
; %bb.1767:
	v_mov_b32_e32 v1, 8
	v_cmp_lt_i16_sdwa s[2:3], v10, v1 src0_sel:BYTE_0 src1_sel:DWORD
	s_and_b64 vcc, exec, s[2:3]
	s_cbranch_vccnz .LBB20_1777
; %bb.1768:
	v_mov_b32_e32 v1, 9
	v_cmp_lt_i16_sdwa s[2:3], v10, v1 src0_sel:BYTE_0 src1_sel:DWORD
	s_and_b64 vcc, exec, s[2:3]
	s_cbranch_vccnz .LBB20_1774
; %bb.1769:
	v_cmp_gt_i16_sdwa s[2:3], v10, v1 src0_sel:BYTE_0 src1_sel:DWORD
	s_and_b64 vcc, exec, s[2:3]
	s_cbranch_vccz .LBB20_1771
; %bb.1770:
	v_mov_b32_e32 v14, 0
	v_cvt_f64_f32_e32 v[12:13], v0
	v_mov_b32_e32 v15, v14
	global_store_dwordx4 v[8:9], v[12:15], off
	s_mov_b64 s[0:1], 0
.LBB20_1771:
	s_andn2_b64 vcc, exec, s[0:1]
	s_cbranch_vccnz .LBB20_1773
; %bb.1772:
	v_mov_b32_e32 v1, 0
	global_store_dwordx2 v[8:9], v[0:1], off
.LBB20_1773:
	s_mov_b64 s[0:1], 0
.LBB20_1774:
	s_andn2_b64 vcc, exec, s[0:1]
	s_cbranch_vccnz .LBB20_1776
; %bb.1775:
	v_cvt_f16_f32_e32 v1, v0
	global_store_dword v[8:9], v1, off
.LBB20_1776:
	s_mov_b64 s[0:1], 0
.LBB20_1777:
	s_andn2_b64 vcc, exec, s[0:1]
	s_cbranch_vccnz .LBB20_1786
; %bb.1778:
	v_mov_b32_e32 v1, 6
	v_cmp_lt_i16_sdwa s[2:3], v10, v1 src0_sel:BYTE_0 src1_sel:DWORD
	s_mov_b64 s[0:1], -1
	s_and_b64 vcc, exec, s[2:3]
	s_cbranch_vccnz .LBB20_1784
; %bb.1779:
	v_cmp_gt_i16_sdwa s[2:3], v10, v1 src0_sel:BYTE_0 src1_sel:DWORD
	s_and_b64 vcc, exec, s[2:3]
	s_cbranch_vccz .LBB20_1781
; %bb.1780:
	v_cvt_f64_f32_e32 v[12:13], v0
	global_store_dwordx2 v[8:9], v[12:13], off
	s_mov_b64 s[0:1], 0
.LBB20_1781:
	s_andn2_b64 vcc, exec, s[0:1]
	s_cbranch_vccnz .LBB20_1783
; %bb.1782:
	global_store_dword v[8:9], v0, off
.LBB20_1783:
	s_mov_b64 s[0:1], 0
.LBB20_1784:
	s_andn2_b64 vcc, exec, s[0:1]
	s_cbranch_vccnz .LBB20_1786
; %bb.1785:
	v_cvt_f16_f32_e32 v1, v0
	global_store_short v[8:9], v1, off
.LBB20_1786:
	s_mov_b64 s[0:1], 0
.LBB20_1787:
	s_andn2_b64 vcc, exec, s[0:1]
	s_cbranch_vccnz .LBB20_1803
; %bb.1788:
	v_mov_b32_e32 v1, 2
	v_cmp_lt_i16_sdwa s[2:3], v10, v1 src0_sel:BYTE_0 src1_sel:DWORD
	s_mov_b64 s[0:1], -1
	s_and_b64 vcc, exec, s[2:3]
	s_cbranch_vccnz .LBB20_1798
; %bb.1789:
	v_mov_b32_e32 v1, 3
	v_cmp_lt_i16_sdwa s[2:3], v10, v1 src0_sel:BYTE_0 src1_sel:DWORD
	s_and_b64 vcc, exec, s[2:3]
	s_cbranch_vccnz .LBB20_1795
; %bb.1790:
	v_cmp_gt_i16_sdwa s[2:3], v10, v1 src0_sel:BYTE_0 src1_sel:DWORD
	s_and_b64 vcc, exec, s[2:3]
	s_cbranch_vccz .LBB20_1792
; %bb.1791:
	v_trunc_f32_e32 v1, v0
	s_mov_b32 s0, 0x2f800000
	v_mul_f32_e64 v5, |v1|, s0
	v_floor_f32_e32 v5, v5
	s_mov_b32 s0, 0xcf800000
	v_cvt_u32_f32_e32 v7, v5
	v_fma_f32 v5, v5, s0, |v1|
	v_cvt_u32_f32_e32 v5, v5
	v_ashrrev_i32_e32 v1, 31, v1
	v_xor_b32_e32 v7, v7, v1
	s_mov_b64 s[0:1], 0
	v_xor_b32_e32 v5, v5, v1
	v_sub_co_u32_e32 v12, vcc, v5, v1
	v_subb_co_u32_e32 v13, vcc, v7, v1, vcc
	global_store_dwordx2 v[8:9], v[12:13], off
.LBB20_1792:
	s_andn2_b64 vcc, exec, s[0:1]
	s_cbranch_vccnz .LBB20_1794
; %bb.1793:
	v_cvt_i32_f32_e32 v1, v0
	global_store_dword v[8:9], v1, off
.LBB20_1794:
	s_mov_b64 s[0:1], 0
.LBB20_1795:
	s_andn2_b64 vcc, exec, s[0:1]
	s_cbranch_vccnz .LBB20_1797
; %bb.1796:
	v_cvt_i32_f32_e32 v1, v0
	global_store_short v[8:9], v1, off
.LBB20_1797:
	s_mov_b64 s[0:1], 0
.LBB20_1798:
	s_andn2_b64 vcc, exec, s[0:1]
	s_cbranch_vccnz .LBB20_1803
; %bb.1799:
	v_mov_b32_e32 v1, 0
	v_cmp_gt_i16_sdwa s[2:3], v10, v1 src0_sel:BYTE_0 src1_sel:DWORD
	s_mov_b64 s[0:1], -1
	s_and_b64 vcc, exec, s[2:3]
	s_cbranch_vccz .LBB20_1801
; %bb.1800:
	v_cvt_i32_f32_e32 v1, v0
	s_mov_b64 s[0:1], 0
	global_store_byte v[8:9], v1, off
.LBB20_1801:
	s_andn2_b64 vcc, exec, s[0:1]
	s_cbranch_vccnz .LBB20_1803
; %bb.1802:
	v_trunc_f32_e32 v0, v0
	s_mov_b32 s0, 0x2f800000
	v_mul_f32_e64 v1, |v0|, s0
	v_floor_f32_e32 v1, v1
	s_mov_b32 s0, 0xcf800000
	v_fma_f32 v1, v1, s0, |v0|
	v_cvt_u32_f32_e32 v1, v1
	v_ashrrev_i32_e32 v0, 31, v0
	v_xor_b32_e32 v1, v1, v0
	v_sub_u32_e32 v0, v1, v0
	global_store_byte v[8:9], v0, off
.LBB20_1803:
	s_mov_b64 s[10:11], -1
.LBB20_1804:
	s_andn2_b64 vcc, exec, s[10:11]
	s_cbranch_vccnz .LBB20_2135
; %bb.1805:
	s_lshl_b32 s18, s12, 7
	v_add_u32_e32 v5, s18, v3
	v_ashrrev_i32_e32 v1, 31, v5
	v_mov_b32_e32 v3, s9
	v_add_co_u32_e32 v0, vcc, s8, v5
	v_addc_co_u32_e32 v1, vcc, v3, v1, vcc
	v_mov_b32_e32 v3, 11
	v_cmp_lt_i16_sdwa s[0:1], v10, v3 src0_sel:BYTE_0 src1_sel:DWORD
	s_and_b64 vcc, exec, s[0:1]
	s_cbranch_vccnz .LBB20_1812
; %bb.1806:
	v_mov_b32_e32 v3, 25
	v_cmp_gt_i16_sdwa s[0:1], v10, v3 src0_sel:BYTE_0 src1_sel:DWORD
	s_mov_b64 s[12:13], -1
	s_mov_b64 s[2:3], 0
	s_and_b64 vcc, exec, s[0:1]
	s_mov_b64 s[10:11], 0
	s_mov_b64 s[0:1], 0
	s_cbranch_vccz .LBB20_1848
; %bb.1807:
	v_mov_b32_e32 v3, 28
	v_cmp_gt_i16_sdwa s[0:1], v10, v3 src0_sel:BYTE_0 src1_sel:DWORD
	s_and_b64 vcc, exec, s[0:1]
	s_cbranch_vccz .LBB20_1813
; %bb.1808:
	v_mov_b32_e32 v3, 43
	v_cmp_gt_i16_sdwa s[0:1], v10, v3 src0_sel:BYTE_0 src1_sel:DWORD
	s_and_b64 vcc, exec, s[0:1]
	;; [unrolled: 5-line block ×3, first 2 shown]
	s_cbranch_vccz .LBB20_1820
; %bb.1810:
	v_mov_b32_e32 v3, 46
	v_cmp_eq_u16_sdwa s[10:11], v10, v3 src0_sel:BYTE_0 src1_sel:DWORD
	s_mov_b64 s[0:1], -1
	s_mov_b64 s[12:13], 0
	s_and_b64 vcc, exec, s[10:11]
	s_mov_b64 s[10:11], 0
	s_cbranch_vccz .LBB20_1821
; %bb.1811:
	v_bfe_u32 v3, v2, 16, 1
	s_movk_i32 s0, 0x7fff
	v_add3_u32 v3, v2, v3, s0
	v_lshrrev_b32_e32 v3, 16, v3
	v_mov_b32_e32 v7, 0x7fc0
	v_cmp_o_f32_e32 vcc, v2, v2
	v_cndmask_b32_e32 v3, v7, v3, vcc
	global_store_dword v[0:1], v3, off
	s_mov_b64 s[0:1], 0
	s_mov_b64 s[10:11], -1
	s_branch .LBB20_1821
.LBB20_1812:
	s_mov_b64 s[0:1], -1
	s_mov_b64 s[10:11], 0
	s_branch .LBB20_1892
.LBB20_1813:
	s_mov_b64 s[0:1], 0
	s_branch .LBB20_1831
.LBB20_1814:
	s_or_saveexec_b64 s[18:19], s[18:19]
                                        ; implicit-def: $sgpr13
	s_xor_b64 exec, exec, s[18:19]
	s_cbranch_execz .LBB20_1715
.LBB20_1815:
	s_mov_b32 s13, 0x46000000
	v_add_f32_e64 v1, |v0|, s13
	v_and_b32_e32 v1, 0xff, v1
	v_cmp_ne_u32_e32 vcc, 0, v1
	s_andn2_b64 s[16:17], s[16:17], exec
	s_and_b64 s[20:21], vcc, exec
	s_mov_b32 s13, 0
	s_or_b64 s[16:17], s[16:17], s[20:21]
	s_or_b64 exec, exec, s[18:19]
	v_mov_b32_e32 v5, s13
	s_and_saveexec_b64 s[18:19], s[16:17]
	s_cbranch_execnz .LBB20_1716
	s_branch .LBB20_1717
.LBB20_1816:
	s_mov_b64 s[0:1], 0
	s_branch .LBB20_1827
.LBB20_1817:
	s_trap 2
	s_or_b64 s[14:15], s[14:15], exec
	s_cbranch_execz .LBB20_1763
	s_branch .LBB20_1764
.LBB20_1818:
	s_or_saveexec_b64 s[16:17], s[16:17]
                                        ; implicit-def: $sgpr13
	s_xor_b64 exec, exec, s[16:17]
	s_cbranch_execz .LBB20_1728
.LBB20_1819:
	s_mov_b32 s13, 0x42800000
	v_add_f32_e64 v1, |v0|, s13
	v_and_b32_e32 v1, 0xff, v1
	v_cmp_ne_u32_e32 vcc, 0, v1
	s_andn2_b64 s[10:11], s[10:11], exec
	s_and_b64 s[18:19], vcc, exec
	s_mov_b32 s13, 0
	s_or_b64 s[10:11], s[10:11], s[18:19]
	s_or_b64 exec, exec, s[16:17]
	v_mov_b32_e32 v5, s13
	s_and_saveexec_b64 s[16:17], s[10:11]
	s_cbranch_execnz .LBB20_1729
	s_branch .LBB20_1730
.LBB20_1820:
	s_mov_b64 s[0:1], 0
.LBB20_1821:
	s_and_b64 vcc, exec, s[12:13]
	s_cbranch_vccz .LBB20_1826
; %bb.1822:
	v_mov_b32_e32 v3, 44
	v_cmp_eq_u16_sdwa s[12:13], v10, v3 src0_sel:BYTE_0 src1_sel:DWORD
	s_mov_b64 s[0:1], -1
	s_and_b64 vcc, exec, s[12:13]
	s_cbranch_vccz .LBB20_1826
; %bb.1823:
	v_bfe_u32 v3, v2, 23, 8
	s_movk_i32 s0, 0xff
	v_cmp_ne_u32_e32 vcc, s0, v3
	v_mov_b32_e32 v7, 0xff
	s_and_saveexec_b64 s[10:11], vcc
; %bb.1824:
	s_mov_b32 s0, 0x3fffff
	v_and_b32_e32 v8, 0x400000, v2
	v_and_or_b32 v3, v2, s0, v3
	v_cmp_ne_u32_e32 vcc, 0, v8
	v_cmp_ne_u32_e64 s[0:1], 0, v3
	s_and_b64 s[0:1], vcc, s[0:1]
	v_lshrrev_b32_e32 v7, 23, v2
	v_cndmask_b32_e64 v3, 0, 1, s[0:1]
	v_add_u32_e32 v7, v7, v3
; %bb.1825:
	s_or_b64 exec, exec, s[10:11]
	s_mov_b64 s[0:1], 0
	s_mov_b64 s[10:11], -1
	global_store_byte v[0:1], v7, off
.LBB20_1826:
	s_mov_b64 s[12:13], 0
.LBB20_1827:
	s_and_b64 vcc, exec, s[12:13]
	s_cbranch_vccz .LBB20_1830
; %bb.1828:
	v_mov_b32_e32 v3, 29
	v_cmp_eq_u16_sdwa s[12:13], v10, v3 src0_sel:BYTE_0 src1_sel:DWORD
	s_mov_b64 s[0:1], -1
	s_and_b64 vcc, exec, s[12:13]
	s_cbranch_vccz .LBB20_1830
; %bb.1829:
	v_trunc_f32_e32 v3, v2
	v_mul_f32_e32 v7, 0x2f800000, v3
	v_floor_f32_e32 v7, v7
	v_fmac_f32_e32 v3, 0xcf800000, v7
	v_cvt_u32_f32_e32 v9, v7
	v_cvt_u32_f32_e32 v8, v3
	s_mov_b64 s[0:1], 0
	s_mov_b64 s[10:11], -1
	s_mov_b64 s[12:13], 0
	global_store_dwordx2 v[0:1], v[8:9], off
	s_branch .LBB20_1831
.LBB20_1830:
	s_mov_b64 s[12:13], 0
.LBB20_1831:
	s_and_b64 vcc, exec, s[12:13]
	s_cbranch_vccz .LBB20_1847
; %bb.1832:
	v_mov_b32_e32 v3, 27
	v_cmp_lt_i16_sdwa s[12:13], v10, v3 src0_sel:BYTE_0 src1_sel:DWORD
	s_mov_b64 s[10:11], -1
	s_and_b64 vcc, exec, s[12:13]
	s_cbranch_vccnz .LBB20_1838
; %bb.1833:
	v_cmp_gt_i16_sdwa s[12:13], v10, v3 src0_sel:BYTE_0 src1_sel:DWORD
	v_cvt_u32_f32_e32 v3, v2
	s_and_b64 vcc, exec, s[12:13]
	s_cbranch_vccz .LBB20_1835
; %bb.1834:
	s_mov_b64 s[10:11], 0
	global_store_dword v[0:1], v3, off
.LBB20_1835:
	s_andn2_b64 vcc, exec, s[10:11]
	s_cbranch_vccnz .LBB20_1837
; %bb.1836:
	global_store_short v[0:1], v3, off
.LBB20_1837:
	s_mov_b64 s[10:11], 0
.LBB20_1838:
	s_andn2_b64 vcc, exec, s[10:11]
	s_cbranch_vccnz .LBB20_1846
; %bb.1839:
	v_and_b32_e32 v3, 0x7fffffff, v2
	s_mov_b32 s10, 0x43800000
	v_cmp_gt_u32_e32 vcc, s10, v3
	v_mov_b32_e32 v7, 0x80
	s_and_saveexec_b64 s[10:11], vcc
	s_cbranch_execz .LBB20_1845
; %bb.1840:
	s_mov_b32 s12, 0x3bffffff
	v_cmp_lt_u32_e32 vcc, s12, v3
	s_mov_b64 s[12:13], 0
                                        ; implicit-def: $vgpr3
	s_and_saveexec_b64 s[16:17], vcc
	s_xor_b64 s[16:17], exec, s[16:17]
	s_cbranch_execz .LBB20_1941
; %bb.1841:
	v_bfe_u32 v3, v2, 20, 1
	s_mov_b32 s19, 0x487ffff
	v_add3_u32 v3, v2, v3, s19
	s_mov_b64 s[12:13], exec
	v_lshrrev_b32_e32 v3, 20, v3
	s_or_saveexec_b64 s[16:17], s[16:17]
                                        ; implicit-def: $sgpr19
	s_xor_b64 exec, exec, s[16:17]
	s_cbranch_execnz .LBB20_1942
.LBB20_1842:
	s_or_b64 exec, exec, s[16:17]
	v_mov_b32_e32 v7, s19
	s_and_saveexec_b64 s[16:17], s[12:13]
.LBB20_1843:
	v_lshrrev_b32_e32 v7, 24, v2
	s_movk_i32 s12, 0x80
	v_and_or_b32 v7, v7, s12, v3
.LBB20_1844:
	s_or_b64 exec, exec, s[16:17]
.LBB20_1845:
	s_or_b64 exec, exec, s[10:11]
	global_store_byte v[0:1], v7, off
.LBB20_1846:
	s_mov_b64 s[10:11], -1
.LBB20_1847:
	s_mov_b64 s[12:13], 0
.LBB20_1848:
	s_and_b64 vcc, exec, s[12:13]
	s_cbranch_vccz .LBB20_1888
; %bb.1849:
	v_mov_b32_e32 v3, 22
	v_cmp_gt_i16_sdwa s[12:13], v10, v3 src0_sel:BYTE_0 src1_sel:DWORD
	s_mov_b64 s[2:3], -1
	s_and_b64 vcc, exec, s[12:13]
	s_cbranch_vccz .LBB20_1881
; %bb.1850:
	v_mov_b32_e32 v3, 24
	v_cmp_lt_i16_sdwa s[10:11], v10, v3 src0_sel:BYTE_0 src1_sel:DWORD
	s_and_b64 vcc, exec, s[10:11]
	s_cbranch_vccnz .LBB20_1870
; %bb.1851:
	v_cmp_gt_i16_sdwa s[10:11], v10, v3 src0_sel:BYTE_0 src1_sel:DWORD
	s_and_b64 vcc, exec, s[10:11]
	s_cbranch_vccz .LBB20_1859
; %bb.1852:
	v_and_b32_e32 v3, 0x7fffffff, v2
	s_mov_b32 s2, 0x47800000
	v_cmp_gt_u32_e32 vcc, s2, v3
	v_mov_b32_e32 v7, 0x80
	s_and_saveexec_b64 s[2:3], vcc
	s_cbranch_execz .LBB20_1858
; %bb.1853:
	s_mov_b32 s10, 0x37ffffff
	v_cmp_lt_u32_e32 vcc, s10, v3
	s_mov_b64 s[10:11], 0
                                        ; implicit-def: $vgpr3
	s_and_saveexec_b64 s[12:13], vcc
	s_xor_b64 s[12:13], exec, s[12:13]
	s_cbranch_execz .LBB20_1945
; %bb.1854:
	v_bfe_u32 v3, v2, 21, 1
	s_mov_b32 s16, 0x88fffff
	v_add3_u32 v3, v2, v3, s16
	s_mov_b64 s[10:11], exec
	v_lshrrev_b32_e32 v3, 21, v3
	s_or_saveexec_b64 s[12:13], s[12:13]
                                        ; implicit-def: $sgpr16
	s_xor_b64 exec, exec, s[12:13]
	s_cbranch_execnz .LBB20_1946
.LBB20_1855:
	s_or_b64 exec, exec, s[12:13]
	v_mov_b32_e32 v7, s16
	s_and_saveexec_b64 s[12:13], s[10:11]
.LBB20_1856:
	v_lshrrev_b32_e32 v7, 24, v2
	s_movk_i32 s10, 0x80
	v_and_or_b32 v7, v7, s10, v3
.LBB20_1857:
	s_or_b64 exec, exec, s[12:13]
.LBB20_1858:
	s_or_b64 exec, exec, s[2:3]
	s_mov_b64 s[2:3], 0
	global_store_byte v[0:1], v7, off
.LBB20_1859:
	s_and_b64 vcc, exec, s[2:3]
	s_cbranch_vccz .LBB20_1869
; %bb.1860:
	v_and_b32_e32 v7, 0x7fffffff, v2
	s_mov_b32 s2, 0x43f00000
	v_cmp_gt_u32_e32 vcc, s2, v7
                                        ; implicit-def: $vgpr3
	s_and_saveexec_b64 s[2:3], vcc
	s_xor_b64 s[2:3], exec, s[2:3]
	s_cbranch_execz .LBB20_1866
; %bb.1861:
	s_mov_b32 s10, 0x3c7fffff
	v_cmp_lt_u32_e32 vcc, s10, v7
                                        ; implicit-def: $vgpr3
	s_and_saveexec_b64 s[10:11], vcc
	s_xor_b64 s[10:11], exec, s[10:11]
; %bb.1862:
	v_bfe_u32 v3, v2, 20, 1
	s_mov_b32 s12, 0x407ffff
	v_add3_u32 v3, v2, v3, s12
	v_lshrrev_b32_e32 v7, 20, v3
	v_and_b32_e32 v3, 0xff00000, v3
	s_mov_b32 s12, 0x7f00000
	v_mov_b32_e32 v8, 0x7e
	v_cmp_ne_u32_e32 vcc, s12, v3
	v_cndmask_b32_e32 v3, v8, v7, vcc
; %bb.1863:
	s_andn2_saveexec_b64 s[10:11], s[10:11]
; %bb.1864:
	s_mov_b32 s12, 0x46800000
	v_add_f32_e64 v3, |v2|, s12
; %bb.1865:
	s_or_b64 exec, exec, s[10:11]
                                        ; implicit-def: $vgpr7
.LBB20_1866:
	s_andn2_saveexec_b64 s[2:3], s[2:3]
; %bb.1867:
	s_mov_b32 s10, 0x7f800000
	v_mov_b32_e32 v3, 0x7e
	v_mov_b32_e32 v8, 0x7f
	v_cmp_lt_u32_e32 vcc, s10, v7
	v_cndmask_b32_e32 v3, v3, v8, vcc
; %bb.1868:
	s_or_b64 exec, exec, s[2:3]
	v_lshrrev_b32_e32 v7, 24, v2
	s_movk_i32 s2, 0x80
	v_and_or_b32 v3, v7, s2, v3
	global_store_byte v[0:1], v3, off
.LBB20_1869:
	s_mov_b64 s[2:3], 0
.LBB20_1870:
	s_andn2_b64 vcc, exec, s[2:3]
	s_cbranch_vccnz .LBB20_1880
; %bb.1871:
	v_and_b32_e32 v7, 0x7fffffff, v2
	s_mov_b32 s2, 0x47800000
	v_cmp_gt_u32_e32 vcc, s2, v7
                                        ; implicit-def: $vgpr3
	s_and_saveexec_b64 s[2:3], vcc
	s_xor_b64 s[2:3], exec, s[2:3]
	s_cbranch_execz .LBB20_1877
; %bb.1872:
	s_mov_b32 s10, 0x387fffff
	v_cmp_lt_u32_e32 vcc, s10, v7
                                        ; implicit-def: $vgpr3
	s_and_saveexec_b64 s[10:11], vcc
	s_xor_b64 s[10:11], exec, s[10:11]
; %bb.1873:
	v_bfe_u32 v3, v2, 21, 1
	s_mov_b32 s12, 0x80fffff
	v_add3_u32 v3, v2, v3, s12
	v_lshrrev_b32_e32 v3, 21, v3
; %bb.1874:
	s_andn2_saveexec_b64 s[10:11], s[10:11]
; %bb.1875:
	s_mov_b32 s12, 0x43000000
	v_add_f32_e64 v3, |v2|, s12
; %bb.1876:
	s_or_b64 exec, exec, s[10:11]
                                        ; implicit-def: $vgpr7
.LBB20_1877:
	s_andn2_saveexec_b64 s[2:3], s[2:3]
; %bb.1878:
	s_mov_b32 s10, 0x7f800000
	v_mov_b32_e32 v3, 0x7c
	v_mov_b32_e32 v8, 0x7f
	v_cmp_lt_u32_e32 vcc, s10, v7
	v_cndmask_b32_e32 v3, v3, v8, vcc
; %bb.1879:
	s_or_b64 exec, exec, s[2:3]
	v_lshrrev_b32_e32 v7, 24, v2
	s_movk_i32 s2, 0x80
	v_and_or_b32 v3, v7, s2, v3
	global_store_byte v[0:1], v3, off
.LBB20_1880:
	s_mov_b64 s[2:3], 0
	s_mov_b64 s[10:11], -1
.LBB20_1881:
	s_andn2_b64 vcc, exec, s[2:3]
	s_mov_b64 s[2:3], 0
	s_cbranch_vccnz .LBB20_1888
; %bb.1882:
	v_mov_b32_e32 v3, 14
	v_cmp_gt_i16_sdwa s[2:3], v10, v3 src0_sel:BYTE_0 src1_sel:DWORD
	s_mov_b64 s[12:13], -1
	s_and_b64 vcc, exec, s[2:3]
	s_cbranch_vccz .LBB20_1886
; %bb.1883:
	v_mov_b32_e32 v3, 15
	v_cmp_eq_u16_sdwa s[2:3], v10, v3 src0_sel:BYTE_0 src1_sel:DWORD
	s_mov_b64 s[0:1], -1
	s_and_b64 vcc, exec, s[2:3]
	s_cbranch_vccz .LBB20_1885
; %bb.1884:
	v_bfe_u32 v3, v2, 16, 1
	s_movk_i32 s0, 0x7fff
	v_add3_u32 v3, v2, v3, s0
	v_lshrrev_b32_e32 v3, 16, v3
	v_mov_b32_e32 v7, 0x7fc0
	v_cmp_o_f32_e32 vcc, v2, v2
	v_cndmask_b32_e32 v3, v7, v3, vcc
	global_store_short v[0:1], v3, off
	s_mov_b64 s[0:1], 0
	s_mov_b64 s[10:11], -1
.LBB20_1885:
	s_mov_b64 s[12:13], 0
.LBB20_1886:
	s_mov_b64 s[2:3], 0
	s_and_b64 vcc, exec, s[12:13]
	s_cbranch_vccz .LBB20_1888
; %bb.1887:
	v_mov_b32_e32 v3, 11
	v_cmp_ne_u16_sdwa s[0:1], v10, v3 src0_sel:BYTE_0 src1_sel:DWORD
	s_mov_b64 s[2:3], -1
.LBB20_1888:
	s_and_b64 vcc, exec, s[0:1]
	s_cbranch_vccnz .LBB20_1944
; %bb.1889:
	s_andn2_b64 vcc, exec, s[2:3]
	s_cbranch_vccnz .LBB20_1891
.LBB20_1890:
	v_cmp_neq_f32_e32 vcc, 0, v2
	v_cndmask_b32_e64 v3, 0, 1, vcc
	s_mov_b64 s[10:11], -1
	global_store_byte v[0:1], v3, off
.LBB20_1891:
	s_mov_b64 s[0:1], 0
.LBB20_1892:
	s_and_b64 vcc, exec, s[0:1]
	s_cbranch_vccz .LBB20_1931
; %bb.1893:
	v_mov_b32_e32 v3, 5
	v_cmp_lt_i16_sdwa s[2:3], v10, v3 src0_sel:BYTE_0 src1_sel:DWORD
	s_mov_b64 s[0:1], -1
	s_and_b64 vcc, exec, s[2:3]
	s_cbranch_vccnz .LBB20_1914
; %bb.1894:
	v_mov_b32_e32 v3, 8
	v_cmp_lt_i16_sdwa s[2:3], v10, v3 src0_sel:BYTE_0 src1_sel:DWORD
	s_and_b64 vcc, exec, s[2:3]
	s_cbranch_vccnz .LBB20_1904
; %bb.1895:
	v_mov_b32_e32 v3, 9
	v_cmp_lt_i16_sdwa s[2:3], v10, v3 src0_sel:BYTE_0 src1_sel:DWORD
	s_and_b64 vcc, exec, s[2:3]
	s_cbranch_vccnz .LBB20_1901
; %bb.1896:
	v_cmp_gt_i16_sdwa s[2:3], v10, v3 src0_sel:BYTE_0 src1_sel:DWORD
	s_and_b64 vcc, exec, s[2:3]
	s_cbranch_vccz .LBB20_1898
; %bb.1897:
	v_mov_b32_e32 v14, 0
	v_cvt_f64_f32_e32 v[12:13], v2
	v_mov_b32_e32 v15, v14
	global_store_dwordx4 v[0:1], v[12:15], off
	s_mov_b64 s[0:1], 0
.LBB20_1898:
	s_andn2_b64 vcc, exec, s[0:1]
	s_cbranch_vccnz .LBB20_1900
; %bb.1899:
	v_mov_b32_e32 v3, 0
	global_store_dwordx2 v[0:1], v[2:3], off
.LBB20_1900:
	s_mov_b64 s[0:1], 0
.LBB20_1901:
	s_andn2_b64 vcc, exec, s[0:1]
	s_cbranch_vccnz .LBB20_1903
; %bb.1902:
	v_cvt_f16_f32_e32 v3, v2
	global_store_dword v[0:1], v3, off
.LBB20_1903:
	s_mov_b64 s[0:1], 0
.LBB20_1904:
	s_andn2_b64 vcc, exec, s[0:1]
	s_cbranch_vccnz .LBB20_1913
; %bb.1905:
	v_mov_b32_e32 v3, 6
	v_cmp_lt_i16_sdwa s[2:3], v10, v3 src0_sel:BYTE_0 src1_sel:DWORD
	s_mov_b64 s[0:1], -1
	s_and_b64 vcc, exec, s[2:3]
	s_cbranch_vccnz .LBB20_1911
; %bb.1906:
	v_cmp_gt_i16_sdwa s[2:3], v10, v3 src0_sel:BYTE_0 src1_sel:DWORD
	s_and_b64 vcc, exec, s[2:3]
	s_cbranch_vccz .LBB20_1908
; %bb.1907:
	v_cvt_f64_f32_e32 v[8:9], v2
	global_store_dwordx2 v[0:1], v[8:9], off
	s_mov_b64 s[0:1], 0
.LBB20_1908:
	s_andn2_b64 vcc, exec, s[0:1]
	s_cbranch_vccnz .LBB20_1910
; %bb.1909:
	global_store_dword v[0:1], v2, off
.LBB20_1910:
	s_mov_b64 s[0:1], 0
.LBB20_1911:
	s_andn2_b64 vcc, exec, s[0:1]
	s_cbranch_vccnz .LBB20_1913
; %bb.1912:
	v_cvt_f16_f32_e32 v3, v2
	global_store_short v[0:1], v3, off
.LBB20_1913:
	s_mov_b64 s[0:1], 0
.LBB20_1914:
	s_andn2_b64 vcc, exec, s[0:1]
	s_cbranch_vccnz .LBB20_1930
; %bb.1915:
	v_mov_b32_e32 v3, 2
	v_cmp_lt_i16_sdwa s[2:3], v10, v3 src0_sel:BYTE_0 src1_sel:DWORD
	s_mov_b64 s[0:1], -1
	s_and_b64 vcc, exec, s[2:3]
	s_cbranch_vccnz .LBB20_1925
; %bb.1916:
	v_mov_b32_e32 v3, 3
	v_cmp_lt_i16_sdwa s[2:3], v10, v3 src0_sel:BYTE_0 src1_sel:DWORD
	s_and_b64 vcc, exec, s[2:3]
	s_cbranch_vccnz .LBB20_1922
; %bb.1917:
	v_cmp_gt_i16_sdwa s[2:3], v10, v3 src0_sel:BYTE_0 src1_sel:DWORD
	s_and_b64 vcc, exec, s[2:3]
	s_cbranch_vccz .LBB20_1919
; %bb.1918:
	v_trunc_f32_e32 v3, v2
	s_mov_b32 s0, 0x2f800000
	v_mul_f32_e64 v7, |v3|, s0
	v_floor_f32_e32 v7, v7
	s_mov_b32 s0, 0xcf800000
	v_cvt_u32_f32_e32 v8, v7
	v_fma_f32 v7, v7, s0, |v3|
	v_cvt_u32_f32_e32 v7, v7
	v_ashrrev_i32_e32 v3, 31, v3
	v_xor_b32_e32 v9, v8, v3
	s_mov_b64 s[0:1], 0
	v_xor_b32_e32 v7, v7, v3
	v_sub_co_u32_e32 v8, vcc, v7, v3
	v_subb_co_u32_e32 v9, vcc, v9, v3, vcc
	global_store_dwordx2 v[0:1], v[8:9], off
.LBB20_1919:
	s_andn2_b64 vcc, exec, s[0:1]
	s_cbranch_vccnz .LBB20_1921
; %bb.1920:
	v_cvt_i32_f32_e32 v3, v2
	global_store_dword v[0:1], v3, off
.LBB20_1921:
	s_mov_b64 s[0:1], 0
.LBB20_1922:
	s_andn2_b64 vcc, exec, s[0:1]
	s_cbranch_vccnz .LBB20_1924
; %bb.1923:
	v_cvt_i32_f32_e32 v3, v2
	global_store_short v[0:1], v3, off
.LBB20_1924:
	s_mov_b64 s[0:1], 0
.LBB20_1925:
	s_andn2_b64 vcc, exec, s[0:1]
	s_cbranch_vccnz .LBB20_1930
; %bb.1926:
	v_mov_b32_e32 v3, 0
	v_cmp_gt_i16_sdwa s[2:3], v10, v3 src0_sel:BYTE_0 src1_sel:DWORD
	s_mov_b64 s[0:1], -1
	s_and_b64 vcc, exec, s[2:3]
	s_cbranch_vccz .LBB20_1928
; %bb.1927:
	v_cvt_i32_f32_e32 v3, v2
	s_mov_b64 s[0:1], 0
	global_store_byte v[0:1], v3, off
.LBB20_1928:
	s_andn2_b64 vcc, exec, s[0:1]
	s_cbranch_vccnz .LBB20_1930
; %bb.1929:
	v_trunc_f32_e32 v2, v2
	s_mov_b32 s0, 0x2f800000
	v_mul_f32_e64 v3, |v2|, s0
	v_floor_f32_e32 v3, v3
	s_mov_b32 s0, 0xcf800000
	v_fma_f32 v3, v3, s0, |v2|
	v_cvt_u32_f32_e32 v3, v3
	v_ashrrev_i32_e32 v2, 31, v2
	v_xor_b32_e32 v3, v3, v2
	v_sub_u32_e32 v2, v3, v2
	global_store_byte v[0:1], v2, off
.LBB20_1930:
	s_mov_b64 s[10:11], -1
.LBB20_1931:
	s_andn2_b64 vcc, exec, s[10:11]
	s_cbranch_vccnz .LBB20_2135
; %bb.1932:
	v_add_u32_e32 v2, s18, v5
	v_ashrrev_i32_e32 v1, 31, v2
	v_mov_b32_e32 v3, s9
	v_add_co_u32_e32 v0, vcc, s8, v2
	v_addc_co_u32_e32 v1, vcc, v3, v1, vcc
	v_mov_b32_e32 v3, 11
	v_cmp_lt_i16_sdwa s[0:1], v10, v3 src0_sel:BYTE_0 src1_sel:DWORD
	s_and_b64 vcc, exec, s[0:1]
	s_cbranch_vccnz .LBB20_1939
; %bb.1933:
	v_mov_b32_e32 v3, 25
	v_cmp_gt_i16_sdwa s[0:1], v10, v3 src0_sel:BYTE_0 src1_sel:DWORD
	s_mov_b64 s[12:13], -1
	s_mov_b64 s[2:3], 0
	s_and_b64 vcc, exec, s[0:1]
	s_mov_b64 s[10:11], 0
	s_mov_b64 s[0:1], 0
	s_cbranch_vccz .LBB20_1975
; %bb.1934:
	v_mov_b32_e32 v3, 28
	v_cmp_gt_i16_sdwa s[0:1], v10, v3 src0_sel:BYTE_0 src1_sel:DWORD
	s_and_b64 vcc, exec, s[0:1]
	s_cbranch_vccz .LBB20_1940
; %bb.1935:
	v_mov_b32_e32 v3, 43
	v_cmp_gt_i16_sdwa s[0:1], v10, v3 src0_sel:BYTE_0 src1_sel:DWORD
	s_and_b64 vcc, exec, s[0:1]
	;; [unrolled: 5-line block ×3, first 2 shown]
	s_cbranch_vccz .LBB20_1947
; %bb.1937:
	v_mov_b32_e32 v3, 46
	v_cmp_eq_u16_sdwa s[10:11], v10, v3 src0_sel:BYTE_0 src1_sel:DWORD
	s_mov_b64 s[0:1], -1
	s_mov_b64 s[12:13], 0
	s_and_b64 vcc, exec, s[10:11]
	s_mov_b64 s[10:11], 0
	s_cbranch_vccz .LBB20_1948
; %bb.1938:
	v_bfe_u32 v3, v4, 16, 1
	s_movk_i32 s0, 0x7fff
	v_add3_u32 v3, v4, v3, s0
	v_lshrrev_b32_e32 v3, 16, v3
	v_mov_b32_e32 v5, 0x7fc0
	v_cmp_o_f32_e32 vcc, v4, v4
	v_cndmask_b32_e32 v3, v5, v3, vcc
	global_store_dword v[0:1], v3, off
	s_mov_b64 s[0:1], 0
	s_mov_b64 s[10:11], -1
	s_branch .LBB20_1948
.LBB20_1939:
	s_mov_b64 s[0:1], -1
	s_mov_b64 s[10:11], 0
	s_branch .LBB20_2019
.LBB20_1940:
	s_mov_b64 s[0:1], 0
	s_branch .LBB20_1958
.LBB20_1941:
	s_or_saveexec_b64 s[16:17], s[16:17]
                                        ; implicit-def: $sgpr19
	s_xor_b64 exec, exec, s[16:17]
	s_cbranch_execz .LBB20_1842
.LBB20_1942:
	s_mov_b32 s19, 0x46000000
	v_add_f32_e64 v3, |v2|, s19
	v_and_b32_e32 v3, 0xff, v3
	v_cmp_ne_u32_e32 vcc, 0, v3
	s_andn2_b64 s[12:13], s[12:13], exec
	s_and_b64 s[20:21], vcc, exec
	s_mov_b32 s19, 0
	s_or_b64 s[12:13], s[12:13], s[20:21]
	s_or_b64 exec, exec, s[16:17]
	v_mov_b32_e32 v7, s19
	s_and_saveexec_b64 s[16:17], s[12:13]
	s_cbranch_execnz .LBB20_1843
	s_branch .LBB20_1844
.LBB20_1943:
	s_mov_b64 s[0:1], 0
	s_branch .LBB20_1954
.LBB20_1944:
	s_trap 2
	s_or_b64 s[14:15], s[14:15], exec
	s_cbranch_execz .LBB20_1890
	s_branch .LBB20_1891
.LBB20_1945:
	s_or_saveexec_b64 s[12:13], s[12:13]
                                        ; implicit-def: $sgpr16
	s_xor_b64 exec, exec, s[12:13]
	s_cbranch_execz .LBB20_1855
.LBB20_1946:
	s_mov_b32 s16, 0x42800000
	v_add_f32_e64 v3, |v2|, s16
	v_and_b32_e32 v3, 0xff, v3
	v_cmp_ne_u32_e32 vcc, 0, v3
	s_andn2_b64 s[10:11], s[10:11], exec
	s_and_b64 s[20:21], vcc, exec
	s_mov_b32 s16, 0
	s_or_b64 s[10:11], s[10:11], s[20:21]
	s_or_b64 exec, exec, s[12:13]
	v_mov_b32_e32 v7, s16
	s_and_saveexec_b64 s[12:13], s[10:11]
	s_cbranch_execnz .LBB20_1856
	s_branch .LBB20_1857
.LBB20_1947:
	s_mov_b64 s[0:1], 0
.LBB20_1948:
	s_and_b64 vcc, exec, s[12:13]
	s_cbranch_vccz .LBB20_1953
; %bb.1949:
	v_mov_b32_e32 v3, 44
	v_cmp_eq_u16_sdwa s[12:13], v10, v3 src0_sel:BYTE_0 src1_sel:DWORD
	s_mov_b64 s[0:1], -1
	s_and_b64 vcc, exec, s[12:13]
	s_cbranch_vccz .LBB20_1953
; %bb.1950:
	v_bfe_u32 v3, v4, 23, 8
	s_movk_i32 s0, 0xff
	v_cmp_ne_u32_e32 vcc, s0, v3
	v_mov_b32_e32 v5, 0xff
	s_and_saveexec_b64 s[10:11], vcc
; %bb.1951:
	s_mov_b32 s0, 0x3fffff
	v_and_b32_e32 v7, 0x400000, v4
	v_and_or_b32 v3, v4, s0, v3
	v_cmp_ne_u32_e32 vcc, 0, v7
	v_cmp_ne_u32_e64 s[0:1], 0, v3
	s_and_b64 s[0:1], vcc, s[0:1]
	v_lshrrev_b32_e32 v5, 23, v4
	v_cndmask_b32_e64 v3, 0, 1, s[0:1]
	v_add_u32_e32 v5, v5, v3
; %bb.1952:
	s_or_b64 exec, exec, s[10:11]
	s_mov_b64 s[0:1], 0
	s_mov_b64 s[10:11], -1
	global_store_byte v[0:1], v5, off
.LBB20_1953:
	s_mov_b64 s[12:13], 0
.LBB20_1954:
	s_and_b64 vcc, exec, s[12:13]
	s_cbranch_vccz .LBB20_1957
; %bb.1955:
	v_mov_b32_e32 v3, 29
	v_cmp_eq_u16_sdwa s[12:13], v10, v3 src0_sel:BYTE_0 src1_sel:DWORD
	s_mov_b64 s[0:1], -1
	s_and_b64 vcc, exec, s[12:13]
	s_cbranch_vccz .LBB20_1957
; %bb.1956:
	v_trunc_f32_e32 v3, v4
	v_mul_f32_e32 v5, 0x2f800000, v3
	v_floor_f32_e32 v5, v5
	v_fmac_f32_e32 v3, 0xcf800000, v5
	v_cvt_u32_f32_e32 v9, v5
	v_cvt_u32_f32_e32 v8, v3
	s_mov_b64 s[0:1], 0
	s_mov_b64 s[10:11], -1
	s_mov_b64 s[12:13], 0
	global_store_dwordx2 v[0:1], v[8:9], off
	s_branch .LBB20_1958
.LBB20_1957:
	s_mov_b64 s[12:13], 0
.LBB20_1958:
	s_and_b64 vcc, exec, s[12:13]
	s_cbranch_vccz .LBB20_1974
; %bb.1959:
	v_mov_b32_e32 v3, 27
	v_cmp_lt_i16_sdwa s[12:13], v10, v3 src0_sel:BYTE_0 src1_sel:DWORD
	s_mov_b64 s[10:11], -1
	s_and_b64 vcc, exec, s[12:13]
	s_cbranch_vccnz .LBB20_1965
; %bb.1960:
	v_cmp_gt_i16_sdwa s[12:13], v10, v3 src0_sel:BYTE_0 src1_sel:DWORD
	v_cvt_u32_f32_e32 v3, v4
	s_and_b64 vcc, exec, s[12:13]
	s_cbranch_vccz .LBB20_1962
; %bb.1961:
	s_mov_b64 s[10:11], 0
	global_store_dword v[0:1], v3, off
.LBB20_1962:
	s_andn2_b64 vcc, exec, s[10:11]
	s_cbranch_vccnz .LBB20_1964
; %bb.1963:
	global_store_short v[0:1], v3, off
.LBB20_1964:
	s_mov_b64 s[10:11], 0
.LBB20_1965:
	s_andn2_b64 vcc, exec, s[10:11]
	s_cbranch_vccnz .LBB20_1973
; %bb.1966:
	v_and_b32_e32 v3, 0x7fffffff, v4
	s_mov_b32 s10, 0x43800000
	v_cmp_gt_u32_e32 vcc, s10, v3
	v_mov_b32_e32 v5, 0x80
	s_and_saveexec_b64 s[10:11], vcc
	s_cbranch_execz .LBB20_1972
; %bb.1967:
	s_mov_b32 s12, 0x3bffffff
	v_cmp_lt_u32_e32 vcc, s12, v3
	s_mov_b64 s[12:13], 0
                                        ; implicit-def: $vgpr3
	s_and_saveexec_b64 s[16:17], vcc
	s_xor_b64 s[16:17], exec, s[16:17]
	s_cbranch_execz .LBB20_2137
; %bb.1968:
	v_bfe_u32 v3, v4, 20, 1
	s_mov_b32 s19, 0x487ffff
	v_add3_u32 v3, v4, v3, s19
	s_mov_b64 s[12:13], exec
	v_lshrrev_b32_e32 v3, 20, v3
	s_or_saveexec_b64 s[16:17], s[16:17]
                                        ; implicit-def: $sgpr19
	s_xor_b64 exec, exec, s[16:17]
	s_cbranch_execnz .LBB20_2138
.LBB20_1969:
	s_or_b64 exec, exec, s[16:17]
	v_mov_b32_e32 v5, s19
	s_and_saveexec_b64 s[16:17], s[12:13]
.LBB20_1970:
	v_lshrrev_b32_e32 v5, 24, v4
	s_movk_i32 s12, 0x80
	v_and_or_b32 v5, v5, s12, v3
.LBB20_1971:
	s_or_b64 exec, exec, s[16:17]
.LBB20_1972:
	s_or_b64 exec, exec, s[10:11]
	global_store_byte v[0:1], v5, off
.LBB20_1973:
	s_mov_b64 s[10:11], -1
.LBB20_1974:
	s_mov_b64 s[12:13], 0
.LBB20_1975:
	s_and_b64 vcc, exec, s[12:13]
	s_cbranch_vccz .LBB20_2015
; %bb.1976:
	v_mov_b32_e32 v3, 22
	v_cmp_gt_i16_sdwa s[12:13], v10, v3 src0_sel:BYTE_0 src1_sel:DWORD
	s_mov_b64 s[2:3], -1
	s_and_b64 vcc, exec, s[12:13]
	s_cbranch_vccz .LBB20_2008
; %bb.1977:
	v_mov_b32_e32 v3, 24
	v_cmp_lt_i16_sdwa s[10:11], v10, v3 src0_sel:BYTE_0 src1_sel:DWORD
	s_and_b64 vcc, exec, s[10:11]
	s_cbranch_vccnz .LBB20_1997
; %bb.1978:
	v_cmp_gt_i16_sdwa s[10:11], v10, v3 src0_sel:BYTE_0 src1_sel:DWORD
	s_and_b64 vcc, exec, s[10:11]
	s_cbranch_vccz .LBB20_1986
; %bb.1979:
	v_and_b32_e32 v3, 0x7fffffff, v4
	s_mov_b32 s2, 0x47800000
	v_cmp_gt_u32_e32 vcc, s2, v3
	v_mov_b32_e32 v5, 0x80
	s_and_saveexec_b64 s[2:3], vcc
	s_cbranch_execz .LBB20_1985
; %bb.1980:
	s_mov_b32 s10, 0x37ffffff
	v_cmp_lt_u32_e32 vcc, s10, v3
	s_mov_b64 s[10:11], 0
                                        ; implicit-def: $vgpr3
	s_and_saveexec_b64 s[12:13], vcc
	s_xor_b64 s[12:13], exec, s[12:13]
	s_cbranch_execz .LBB20_2140
; %bb.1981:
	v_bfe_u32 v3, v4, 21, 1
	s_mov_b32 s16, 0x88fffff
	v_add3_u32 v3, v4, v3, s16
	s_mov_b64 s[10:11], exec
	v_lshrrev_b32_e32 v3, 21, v3
	s_or_saveexec_b64 s[12:13], s[12:13]
                                        ; implicit-def: $sgpr16
	s_xor_b64 exec, exec, s[12:13]
	s_cbranch_execnz .LBB20_2141
.LBB20_1982:
	s_or_b64 exec, exec, s[12:13]
	v_mov_b32_e32 v5, s16
	s_and_saveexec_b64 s[12:13], s[10:11]
.LBB20_1983:
	v_lshrrev_b32_e32 v5, 24, v4
	s_movk_i32 s10, 0x80
	v_and_or_b32 v5, v5, s10, v3
.LBB20_1984:
	s_or_b64 exec, exec, s[12:13]
.LBB20_1985:
	s_or_b64 exec, exec, s[2:3]
	s_mov_b64 s[2:3], 0
	global_store_byte v[0:1], v5, off
.LBB20_1986:
	s_and_b64 vcc, exec, s[2:3]
	s_cbranch_vccz .LBB20_1996
; %bb.1987:
	v_and_b32_e32 v5, 0x7fffffff, v4
	s_mov_b32 s2, 0x43f00000
	v_cmp_gt_u32_e32 vcc, s2, v5
                                        ; implicit-def: $vgpr3
	s_and_saveexec_b64 s[2:3], vcc
	s_xor_b64 s[2:3], exec, s[2:3]
	s_cbranch_execz .LBB20_1993
; %bb.1988:
	s_mov_b32 s10, 0x3c7fffff
	v_cmp_lt_u32_e32 vcc, s10, v5
                                        ; implicit-def: $vgpr3
	s_and_saveexec_b64 s[10:11], vcc
	s_xor_b64 s[10:11], exec, s[10:11]
; %bb.1989:
	v_bfe_u32 v3, v4, 20, 1
	s_mov_b32 s12, 0x407ffff
	v_add3_u32 v3, v4, v3, s12
	v_lshrrev_b32_e32 v5, 20, v3
	v_and_b32_e32 v3, 0xff00000, v3
	s_mov_b32 s12, 0x7f00000
	v_mov_b32_e32 v7, 0x7e
	v_cmp_ne_u32_e32 vcc, s12, v3
	v_cndmask_b32_e32 v3, v7, v5, vcc
; %bb.1990:
	s_andn2_saveexec_b64 s[10:11], s[10:11]
; %bb.1991:
	s_mov_b32 s12, 0x46800000
	v_add_f32_e64 v3, |v4|, s12
; %bb.1992:
	s_or_b64 exec, exec, s[10:11]
                                        ; implicit-def: $vgpr5
.LBB20_1993:
	s_andn2_saveexec_b64 s[2:3], s[2:3]
; %bb.1994:
	s_mov_b32 s10, 0x7f800000
	v_mov_b32_e32 v3, 0x7e
	v_mov_b32_e32 v7, 0x7f
	v_cmp_lt_u32_e32 vcc, s10, v5
	v_cndmask_b32_e32 v3, v3, v7, vcc
; %bb.1995:
	s_or_b64 exec, exec, s[2:3]
	v_lshrrev_b32_e32 v5, 24, v4
	s_movk_i32 s2, 0x80
	v_and_or_b32 v3, v5, s2, v3
	global_store_byte v[0:1], v3, off
.LBB20_1996:
	s_mov_b64 s[2:3], 0
.LBB20_1997:
	s_andn2_b64 vcc, exec, s[2:3]
	s_cbranch_vccnz .LBB20_2007
; %bb.1998:
	v_and_b32_e32 v5, 0x7fffffff, v4
	s_mov_b32 s2, 0x47800000
	v_cmp_gt_u32_e32 vcc, s2, v5
                                        ; implicit-def: $vgpr3
	s_and_saveexec_b64 s[2:3], vcc
	s_xor_b64 s[2:3], exec, s[2:3]
	s_cbranch_execz .LBB20_2004
; %bb.1999:
	s_mov_b32 s10, 0x387fffff
	v_cmp_lt_u32_e32 vcc, s10, v5
                                        ; implicit-def: $vgpr3
	s_and_saveexec_b64 s[10:11], vcc
	s_xor_b64 s[10:11], exec, s[10:11]
; %bb.2000:
	v_bfe_u32 v3, v4, 21, 1
	s_mov_b32 s12, 0x80fffff
	v_add3_u32 v3, v4, v3, s12
	v_lshrrev_b32_e32 v3, 21, v3
; %bb.2001:
	s_andn2_saveexec_b64 s[10:11], s[10:11]
; %bb.2002:
	s_mov_b32 s12, 0x43000000
	v_add_f32_e64 v3, |v4|, s12
; %bb.2003:
	s_or_b64 exec, exec, s[10:11]
                                        ; implicit-def: $vgpr5
.LBB20_2004:
	s_andn2_saveexec_b64 s[2:3], s[2:3]
; %bb.2005:
	s_mov_b32 s10, 0x7f800000
	v_mov_b32_e32 v3, 0x7c
	v_mov_b32_e32 v7, 0x7f
	v_cmp_lt_u32_e32 vcc, s10, v5
	v_cndmask_b32_e32 v3, v3, v7, vcc
; %bb.2006:
	s_or_b64 exec, exec, s[2:3]
	v_lshrrev_b32_e32 v5, 24, v4
	s_movk_i32 s2, 0x80
	v_and_or_b32 v3, v5, s2, v3
	global_store_byte v[0:1], v3, off
.LBB20_2007:
	s_mov_b64 s[2:3], 0
	s_mov_b64 s[10:11], -1
.LBB20_2008:
	s_andn2_b64 vcc, exec, s[2:3]
	s_mov_b64 s[2:3], 0
	s_cbranch_vccnz .LBB20_2015
; %bb.2009:
	v_mov_b32_e32 v3, 14
	v_cmp_gt_i16_sdwa s[2:3], v10, v3 src0_sel:BYTE_0 src1_sel:DWORD
	s_mov_b64 s[12:13], -1
	s_and_b64 vcc, exec, s[2:3]
	s_cbranch_vccz .LBB20_2013
; %bb.2010:
	v_mov_b32_e32 v3, 15
	v_cmp_eq_u16_sdwa s[2:3], v10, v3 src0_sel:BYTE_0 src1_sel:DWORD
	s_mov_b64 s[0:1], -1
	s_and_b64 vcc, exec, s[2:3]
	s_cbranch_vccz .LBB20_2012
; %bb.2011:
	v_bfe_u32 v3, v4, 16, 1
	s_movk_i32 s0, 0x7fff
	v_add3_u32 v3, v4, v3, s0
	v_lshrrev_b32_e32 v3, 16, v3
	v_mov_b32_e32 v5, 0x7fc0
	v_cmp_o_f32_e32 vcc, v4, v4
	v_cndmask_b32_e32 v3, v5, v3, vcc
	global_store_short v[0:1], v3, off
	s_mov_b64 s[0:1], 0
	s_mov_b64 s[10:11], -1
.LBB20_2012:
	s_mov_b64 s[12:13], 0
.LBB20_2013:
	s_mov_b64 s[2:3], 0
	s_and_b64 vcc, exec, s[12:13]
	s_cbranch_vccz .LBB20_2015
; %bb.2014:
	v_mov_b32_e32 v3, 11
	v_cmp_ne_u16_sdwa s[0:1], v10, v3 src0_sel:BYTE_0 src1_sel:DWORD
	s_mov_b64 s[2:3], -1
.LBB20_2015:
	s_and_b64 vcc, exec, s[0:1]
	s_cbranch_vccnz .LBB20_2139
; %bb.2016:
	s_andn2_b64 vcc, exec, s[2:3]
	s_cbranch_vccnz .LBB20_2018
.LBB20_2017:
	v_cmp_neq_f32_e32 vcc, 0, v4
	v_cndmask_b32_e64 v3, 0, 1, vcc
	s_mov_b64 s[10:11], -1
	global_store_byte v[0:1], v3, off
.LBB20_2018:
	s_mov_b64 s[0:1], 0
.LBB20_2019:
	s_and_b64 vcc, exec, s[0:1]
	s_cbranch_vccz .LBB20_2058
; %bb.2020:
	v_mov_b32_e32 v3, 5
	v_cmp_lt_i16_sdwa s[2:3], v10, v3 src0_sel:BYTE_0 src1_sel:DWORD
	s_mov_b64 s[0:1], -1
	s_and_b64 vcc, exec, s[2:3]
	s_cbranch_vccnz .LBB20_2041
; %bb.2021:
	v_mov_b32_e32 v3, 8
	v_cmp_lt_i16_sdwa s[2:3], v10, v3 src0_sel:BYTE_0 src1_sel:DWORD
	s_and_b64 vcc, exec, s[2:3]
	s_cbranch_vccnz .LBB20_2031
; %bb.2022:
	v_mov_b32_e32 v3, 9
	v_cmp_lt_i16_sdwa s[2:3], v10, v3 src0_sel:BYTE_0 src1_sel:DWORD
	s_and_b64 vcc, exec, s[2:3]
	s_cbranch_vccnz .LBB20_2028
; %bb.2023:
	v_cmp_gt_i16_sdwa s[2:3], v10, v3 src0_sel:BYTE_0 src1_sel:DWORD
	s_and_b64 vcc, exec, s[2:3]
	s_cbranch_vccz .LBB20_2025
; %bb.2024:
	v_mov_b32_e32 v14, 0
	v_cvt_f64_f32_e32 v[12:13], v4
	v_mov_b32_e32 v15, v14
	global_store_dwordx4 v[0:1], v[12:15], off
	s_mov_b64 s[0:1], 0
.LBB20_2025:
	s_andn2_b64 vcc, exec, s[0:1]
	s_cbranch_vccnz .LBB20_2027
; %bb.2026:
	v_mov_b32_e32 v5, 0
	global_store_dwordx2 v[0:1], v[4:5], off
.LBB20_2027:
	s_mov_b64 s[0:1], 0
.LBB20_2028:
	s_andn2_b64 vcc, exec, s[0:1]
	s_cbranch_vccnz .LBB20_2030
; %bb.2029:
	v_cvt_f16_f32_e32 v3, v4
	global_store_dword v[0:1], v3, off
.LBB20_2030:
	s_mov_b64 s[0:1], 0
.LBB20_2031:
	s_andn2_b64 vcc, exec, s[0:1]
	s_cbranch_vccnz .LBB20_2040
; %bb.2032:
	v_mov_b32_e32 v3, 6
	v_cmp_lt_i16_sdwa s[2:3], v10, v3 src0_sel:BYTE_0 src1_sel:DWORD
	s_mov_b64 s[0:1], -1
	s_and_b64 vcc, exec, s[2:3]
	s_cbranch_vccnz .LBB20_2038
; %bb.2033:
	v_cmp_gt_i16_sdwa s[2:3], v10, v3 src0_sel:BYTE_0 src1_sel:DWORD
	s_and_b64 vcc, exec, s[2:3]
	s_cbranch_vccz .LBB20_2035
; %bb.2034:
	v_cvt_f64_f32_e32 v[8:9], v4
	global_store_dwordx2 v[0:1], v[8:9], off
	s_mov_b64 s[0:1], 0
.LBB20_2035:
	s_andn2_b64 vcc, exec, s[0:1]
	s_cbranch_vccnz .LBB20_2037
; %bb.2036:
	global_store_dword v[0:1], v4, off
.LBB20_2037:
	s_mov_b64 s[0:1], 0
.LBB20_2038:
	s_andn2_b64 vcc, exec, s[0:1]
	s_cbranch_vccnz .LBB20_2040
; %bb.2039:
	v_cvt_f16_f32_e32 v3, v4
	global_store_short v[0:1], v3, off
.LBB20_2040:
	s_mov_b64 s[0:1], 0
.LBB20_2041:
	s_andn2_b64 vcc, exec, s[0:1]
	s_cbranch_vccnz .LBB20_2057
; %bb.2042:
	v_mov_b32_e32 v3, 2
	v_cmp_lt_i16_sdwa s[2:3], v10, v3 src0_sel:BYTE_0 src1_sel:DWORD
	s_mov_b64 s[0:1], -1
	s_and_b64 vcc, exec, s[2:3]
	s_cbranch_vccnz .LBB20_2052
; %bb.2043:
	v_mov_b32_e32 v3, 3
	v_cmp_lt_i16_sdwa s[2:3], v10, v3 src0_sel:BYTE_0 src1_sel:DWORD
	s_and_b64 vcc, exec, s[2:3]
	s_cbranch_vccnz .LBB20_2049
; %bb.2044:
	v_cmp_gt_i16_sdwa s[2:3], v10, v3 src0_sel:BYTE_0 src1_sel:DWORD
	s_and_b64 vcc, exec, s[2:3]
	s_cbranch_vccz .LBB20_2046
; %bb.2045:
	v_trunc_f32_e32 v3, v4
	s_mov_b32 s0, 0x2f800000
	v_mul_f32_e64 v5, |v3|, s0
	v_floor_f32_e32 v5, v5
	s_mov_b32 s0, 0xcf800000
	v_cvt_u32_f32_e32 v7, v5
	v_fma_f32 v5, v5, s0, |v3|
	v_cvt_u32_f32_e32 v5, v5
	v_ashrrev_i32_e32 v3, 31, v3
	v_xor_b32_e32 v7, v7, v3
	s_mov_b64 s[0:1], 0
	v_xor_b32_e32 v5, v5, v3
	v_sub_co_u32_e32 v8, vcc, v5, v3
	v_subb_co_u32_e32 v9, vcc, v7, v3, vcc
	global_store_dwordx2 v[0:1], v[8:9], off
.LBB20_2046:
	s_andn2_b64 vcc, exec, s[0:1]
	s_cbranch_vccnz .LBB20_2048
; %bb.2047:
	v_cvt_i32_f32_e32 v3, v4
	global_store_dword v[0:1], v3, off
.LBB20_2048:
	s_mov_b64 s[0:1], 0
.LBB20_2049:
	s_andn2_b64 vcc, exec, s[0:1]
	s_cbranch_vccnz .LBB20_2051
; %bb.2050:
	v_cvt_i32_f32_e32 v3, v4
	global_store_short v[0:1], v3, off
.LBB20_2051:
	s_mov_b64 s[0:1], 0
.LBB20_2052:
	s_andn2_b64 vcc, exec, s[0:1]
	s_cbranch_vccnz .LBB20_2057
; %bb.2053:
	v_mov_b32_e32 v3, 0
	v_cmp_gt_i16_sdwa s[2:3], v10, v3 src0_sel:BYTE_0 src1_sel:DWORD
	s_mov_b64 s[0:1], -1
	s_and_b64 vcc, exec, s[2:3]
	s_cbranch_vccz .LBB20_2055
; %bb.2054:
	v_cvt_i32_f32_e32 v3, v4
	s_mov_b64 s[0:1], 0
	global_store_byte v[0:1], v3, off
.LBB20_2055:
	s_andn2_b64 vcc, exec, s[0:1]
	s_cbranch_vccnz .LBB20_2057
; %bb.2056:
	v_trunc_f32_e32 v3, v4
	s_mov_b32 s0, 0x2f800000
	v_mul_f32_e64 v4, |v3|, s0
	v_floor_f32_e32 v4, v4
	s_mov_b32 s0, 0xcf800000
	v_fma_f32 v4, v4, s0, |v3|
	v_cvt_u32_f32_e32 v4, v4
	v_ashrrev_i32_e32 v3, 31, v3
	v_xor_b32_e32 v4, v4, v3
	v_sub_u32_e32 v3, v4, v3
	global_store_byte v[0:1], v3, off
.LBB20_2057:
	s_mov_b64 s[10:11], -1
.LBB20_2058:
	s_andn2_b64 vcc, exec, s[10:11]
	s_cbranch_vccnz .LBB20_2135
; %bb.2059:
	v_add_u32_e32 v0, s18, v2
	v_ashrrev_i32_e32 v1, 31, v0
	v_mov_b32_e32 v2, s9
	v_add_co_u32_e32 v0, vcc, s8, v0
	v_addc_co_u32_e32 v1, vcc, v2, v1, vcc
	v_and_b32_e32 v2, 0xff, v10
	v_cmp_gt_i16_e32 vcc, 11, v2
	s_cbranch_vccnz .LBB20_2136
; %bb.2060:
	v_cmp_lt_i16_e32 vcc, 25, v2
	s_mov_b64 s[8:9], -1
	s_mov_b64 s[2:3], 0
	s_mov_b64 s[0:1], 0
	s_cbranch_vccz .LBB20_2093
; %bb.2061:
	v_cmp_lt_i16_e32 vcc, 28, v2
	s_cbranch_vccz .LBB20_2077
; %bb.2062:
	v_cmp_lt_i16_e32 vcc, 43, v2
	;; [unrolled: 3-line block ×3, first 2 shown]
	s_cbranch_vccz .LBB20_2067
; %bb.2064:
	v_cmp_eq_u16_e32 vcc, 46, v2
	s_mov_b64 s[0:1], -1
	s_cbranch_vccz .LBB20_2066
; %bb.2065:
	v_bfe_u32 v3, v6, 16, 1
	s_movk_i32 s0, 0x7fff
	v_add3_u32 v3, v6, v3, s0
	v_lshrrev_b32_e32 v3, 16, v3
	v_mov_b32_e32 v4, 0x7fc0
	v_cmp_o_f32_e32 vcc, v6, v6
	v_cndmask_b32_e32 v3, v4, v3, vcc
	global_store_dword v[0:1], v3, off
	s_mov_b64 s[0:1], 0
.LBB20_2066:
	s_mov_b64 s[8:9], 0
.LBB20_2067:
	s_and_b64 vcc, exec, s[8:9]
	s_cbranch_vccz .LBB20_2072
; %bb.2068:
	v_cmp_eq_u16_e32 vcc, 44, v2
	s_mov_b64 s[0:1], -1
	s_cbranch_vccz .LBB20_2072
; %bb.2069:
	v_bfe_u32 v3, v6, 23, 8
	s_movk_i32 s0, 0xff
	v_cmp_ne_u32_e32 vcc, s0, v3
	v_mov_b32_e32 v4, 0xff
	s_and_saveexec_b64 s[8:9], vcc
; %bb.2070:
	s_mov_b32 s0, 0x3fffff
	v_and_b32_e32 v5, 0x400000, v6
	v_and_or_b32 v3, v6, s0, v3
	v_cmp_ne_u32_e32 vcc, 0, v5
	v_cmp_ne_u32_e64 s[0:1], 0, v3
	s_and_b64 s[0:1], vcc, s[0:1]
	v_lshrrev_b32_e32 v4, 23, v6
	v_cndmask_b32_e64 v3, 0, 1, s[0:1]
	v_add_u32_e32 v4, v4, v3
; %bb.2071:
	s_or_b64 exec, exec, s[8:9]
	s_mov_b64 s[0:1], 0
	global_store_byte v[0:1], v4, off
.LBB20_2072:
	s_mov_b64 s[8:9], 0
.LBB20_2073:
	s_and_b64 vcc, exec, s[8:9]
	s_cbranch_vccz .LBB20_2076
; %bb.2074:
	v_cmp_eq_u16_e32 vcc, 29, v2
	s_mov_b64 s[0:1], -1
	s_cbranch_vccz .LBB20_2076
; %bb.2075:
	v_trunc_f32_e32 v3, v6
	v_mul_f32_e32 v4, 0x2f800000, v3
	v_floor_f32_e32 v4, v4
	v_fmac_f32_e32 v3, 0xcf800000, v4
	v_cvt_u32_f32_e32 v5, v4
	v_cvt_u32_f32_e32 v4, v3
	s_mov_b64 s[0:1], 0
	global_store_dwordx2 v[0:1], v[4:5], off
.LBB20_2076:
	s_mov_b64 s[8:9], 0
.LBB20_2077:
	s_and_b64 vcc, exec, s[8:9]
	s_cbranch_vccz .LBB20_2092
; %bb.2078:
	v_cmp_gt_i16_e32 vcc, 27, v2
	s_mov_b64 s[8:9], -1
	s_cbranch_vccnz .LBB20_2084
; %bb.2079:
	v_cvt_u32_f32_e32 v3, v6
	v_cmp_lt_i16_e32 vcc, 27, v2
	s_cbranch_vccz .LBB20_2081
; %bb.2080:
	global_store_dword v[0:1], v3, off
	s_mov_b64 s[8:9], 0
.LBB20_2081:
	s_andn2_b64 vcc, exec, s[8:9]
	s_cbranch_vccnz .LBB20_2083
; %bb.2082:
	global_store_short v[0:1], v3, off
.LBB20_2083:
	s_mov_b64 s[8:9], 0
.LBB20_2084:
	s_andn2_b64 vcc, exec, s[8:9]
	s_cbranch_vccnz .LBB20_2092
; %bb.2085:
	v_and_b32_e32 v3, 0x7fffffff, v6
	s_mov_b32 s8, 0x43800000
	v_cmp_gt_u32_e32 vcc, s8, v3
	v_mov_b32_e32 v4, 0x80
	s_and_saveexec_b64 s[8:9], vcc
	s_cbranch_execz .LBB20_2091
; %bb.2086:
	s_mov_b32 s10, 0x3bffffff
	v_cmp_lt_u32_e32 vcc, s10, v3
	s_mov_b64 s[10:11], 0
                                        ; implicit-def: $vgpr3
	s_and_saveexec_b64 s[12:13], vcc
	s_xor_b64 s[12:13], exec, s[12:13]
	s_cbranch_execz .LBB20_2142
; %bb.2087:
	v_bfe_u32 v3, v6, 20, 1
	s_mov_b32 s16, 0x487ffff
	v_add3_u32 v3, v6, v3, s16
	s_mov_b64 s[10:11], exec
	v_lshrrev_b32_e32 v3, 20, v3
	s_or_saveexec_b64 s[12:13], s[12:13]
                                        ; implicit-def: $sgpr16
	s_xor_b64 exec, exec, s[12:13]
	s_cbranch_execnz .LBB20_2143
.LBB20_2088:
	s_or_b64 exec, exec, s[12:13]
	v_mov_b32_e32 v4, s16
	s_and_saveexec_b64 s[12:13], s[10:11]
.LBB20_2089:
	v_lshrrev_b32_e32 v4, 24, v6
	s_movk_i32 s10, 0x80
	v_and_or_b32 v4, v4, s10, v3
.LBB20_2090:
	s_or_b64 exec, exec, s[12:13]
.LBB20_2091:
	s_or_b64 exec, exec, s[8:9]
	global_store_byte v[0:1], v4, off
.LBB20_2092:
	s_mov_b64 s[8:9], 0
.LBB20_2093:
	s_and_b64 vcc, exec, s[8:9]
	s_cbranch_vccz .LBB20_2133
; %bb.2094:
	v_cmp_lt_i16_e32 vcc, 22, v2
	s_mov_b64 s[2:3], -1
	s_cbranch_vccz .LBB20_2126
; %bb.2095:
	v_cmp_gt_i16_e32 vcc, 24, v2
	s_cbranch_vccnz .LBB20_2115
; %bb.2096:
	v_cmp_lt_i16_e32 vcc, 24, v2
	s_cbranch_vccz .LBB20_2104
; %bb.2097:
	v_and_b32_e32 v3, 0x7fffffff, v6
	s_mov_b32 s2, 0x47800000
	v_cmp_gt_u32_e32 vcc, s2, v3
	v_mov_b32_e32 v4, 0x80
	s_and_saveexec_b64 s[2:3], vcc
	s_cbranch_execz .LBB20_2103
; %bb.2098:
	s_mov_b32 s8, 0x37ffffff
	v_cmp_lt_u32_e32 vcc, s8, v3
	s_mov_b64 s[8:9], 0
                                        ; implicit-def: $vgpr3
	s_and_saveexec_b64 s[10:11], vcc
	s_xor_b64 s[10:11], exec, s[10:11]
	s_cbranch_execz .LBB20_2145
; %bb.2099:
	v_bfe_u32 v3, v6, 21, 1
	s_mov_b32 s12, 0x88fffff
	v_add3_u32 v3, v6, v3, s12
	s_mov_b64 s[8:9], exec
	v_lshrrev_b32_e32 v3, 21, v3
	s_or_saveexec_b64 s[10:11], s[10:11]
                                        ; implicit-def: $sgpr12
	s_xor_b64 exec, exec, s[10:11]
	s_cbranch_execnz .LBB20_2146
.LBB20_2100:
	s_or_b64 exec, exec, s[10:11]
	v_mov_b32_e32 v4, s12
	s_and_saveexec_b64 s[10:11], s[8:9]
.LBB20_2101:
	v_lshrrev_b32_e32 v4, 24, v6
	s_movk_i32 s8, 0x80
	v_and_or_b32 v4, v4, s8, v3
.LBB20_2102:
	s_or_b64 exec, exec, s[10:11]
.LBB20_2103:
	s_or_b64 exec, exec, s[2:3]
	s_mov_b64 s[2:3], 0
	global_store_byte v[0:1], v4, off
.LBB20_2104:
	s_and_b64 vcc, exec, s[2:3]
	s_cbranch_vccz .LBB20_2114
; %bb.2105:
	v_and_b32_e32 v4, 0x7fffffff, v6
	s_mov_b32 s2, 0x43f00000
	v_cmp_gt_u32_e32 vcc, s2, v4
                                        ; implicit-def: $vgpr3
	s_and_saveexec_b64 s[2:3], vcc
	s_xor_b64 s[2:3], exec, s[2:3]
	s_cbranch_execz .LBB20_2111
; %bb.2106:
	s_mov_b32 s8, 0x3c7fffff
	v_cmp_lt_u32_e32 vcc, s8, v4
                                        ; implicit-def: $vgpr3
	s_and_saveexec_b64 s[8:9], vcc
	s_xor_b64 s[8:9], exec, s[8:9]
; %bb.2107:
	v_bfe_u32 v3, v6, 20, 1
	s_mov_b32 s10, 0x407ffff
	v_add3_u32 v3, v6, v3, s10
	v_lshrrev_b32_e32 v4, 20, v3
	v_and_b32_e32 v3, 0xff00000, v3
	s_mov_b32 s10, 0x7f00000
	v_mov_b32_e32 v5, 0x7e
	v_cmp_ne_u32_e32 vcc, s10, v3
	v_cndmask_b32_e32 v3, v5, v4, vcc
; %bb.2108:
	s_andn2_saveexec_b64 s[8:9], s[8:9]
; %bb.2109:
	s_mov_b32 s10, 0x46800000
	v_add_f32_e64 v3, |v6|, s10
; %bb.2110:
	s_or_b64 exec, exec, s[8:9]
                                        ; implicit-def: $vgpr4
.LBB20_2111:
	s_andn2_saveexec_b64 s[2:3], s[2:3]
; %bb.2112:
	s_mov_b32 s8, 0x7f800000
	v_mov_b32_e32 v3, 0x7e
	v_mov_b32_e32 v5, 0x7f
	v_cmp_lt_u32_e32 vcc, s8, v4
	v_cndmask_b32_e32 v3, v3, v5, vcc
; %bb.2113:
	s_or_b64 exec, exec, s[2:3]
	v_lshrrev_b32_e32 v4, 24, v6
	s_movk_i32 s2, 0x80
	v_and_or_b32 v3, v4, s2, v3
	global_store_byte v[0:1], v3, off
.LBB20_2114:
	s_mov_b64 s[2:3], 0
.LBB20_2115:
	s_andn2_b64 vcc, exec, s[2:3]
	s_cbranch_vccnz .LBB20_2125
; %bb.2116:
	v_and_b32_e32 v4, 0x7fffffff, v6
	s_mov_b32 s2, 0x47800000
	v_cmp_gt_u32_e32 vcc, s2, v4
                                        ; implicit-def: $vgpr3
	s_and_saveexec_b64 s[2:3], vcc
	s_xor_b64 s[2:3], exec, s[2:3]
	s_cbranch_execz .LBB20_2122
; %bb.2117:
	s_mov_b32 s8, 0x387fffff
	v_cmp_lt_u32_e32 vcc, s8, v4
                                        ; implicit-def: $vgpr3
	s_and_saveexec_b64 s[8:9], vcc
	s_xor_b64 s[8:9], exec, s[8:9]
; %bb.2118:
	v_bfe_u32 v3, v6, 21, 1
	s_mov_b32 s10, 0x80fffff
	v_add3_u32 v3, v6, v3, s10
	v_lshrrev_b32_e32 v3, 21, v3
; %bb.2119:
	s_andn2_saveexec_b64 s[8:9], s[8:9]
; %bb.2120:
	s_mov_b32 s10, 0x43000000
	v_add_f32_e64 v3, |v6|, s10
; %bb.2121:
	s_or_b64 exec, exec, s[8:9]
                                        ; implicit-def: $vgpr4
.LBB20_2122:
	s_andn2_saveexec_b64 s[2:3], s[2:3]
; %bb.2123:
	s_mov_b32 s8, 0x7f800000
	v_mov_b32_e32 v3, 0x7c
	v_mov_b32_e32 v5, 0x7f
	v_cmp_lt_u32_e32 vcc, s8, v4
	v_cndmask_b32_e32 v3, v3, v5, vcc
; %bb.2124:
	s_or_b64 exec, exec, s[2:3]
	v_lshrrev_b32_e32 v4, 24, v6
	s_movk_i32 s2, 0x80
	v_and_or_b32 v3, v4, s2, v3
	global_store_byte v[0:1], v3, off
.LBB20_2125:
	s_mov_b64 s[2:3], 0
.LBB20_2126:
	s_andn2_b64 vcc, exec, s[2:3]
	s_mov_b64 s[2:3], 0
	s_cbranch_vccnz .LBB20_2133
; %bb.2127:
	v_cmp_lt_i16_e32 vcc, 14, v2
	s_mov_b64 s[8:9], -1
	s_cbranch_vccz .LBB20_2131
; %bb.2128:
	v_cmp_eq_u16_e32 vcc, 15, v2
	s_mov_b64 s[0:1], -1
	s_cbranch_vccz .LBB20_2130
; %bb.2129:
	v_bfe_u32 v3, v6, 16, 1
	s_movk_i32 s0, 0x7fff
	v_add3_u32 v3, v6, v3, s0
	v_lshrrev_b32_e32 v3, 16, v3
	v_mov_b32_e32 v4, 0x7fc0
	v_cmp_o_f32_e32 vcc, v6, v6
	v_cndmask_b32_e32 v3, v4, v3, vcc
	global_store_short v[0:1], v3, off
	s_mov_b64 s[0:1], 0
.LBB20_2130:
	s_mov_b64 s[8:9], 0
.LBB20_2131:
	s_and_b64 vcc, exec, s[8:9]
	s_cbranch_vccz .LBB20_2133
; %bb.2132:
	v_cmp_ne_u16_e64 s[0:1], 11, v2
	s_mov_b64 s[2:3], -1
.LBB20_2133:
	s_and_b64 vcc, exec, s[0:1]
	s_cbranch_vccnz .LBB20_2144
.LBB20_2134:
	s_mov_b64 s[0:1], 0
	s_branch .LBB20_1645
.LBB20_2135:
	s_mov_b64 s[0:1], 0
                                        ; implicit-def: $vgpr2
                                        ; implicit-def: $vgpr0_vgpr1
	s_branch .LBB20_1644
.LBB20_2136:
	s_mov_b64 s[2:3], 0
	s_mov_b64 s[0:1], -1
	s_branch .LBB20_1645
.LBB20_2137:
	s_or_saveexec_b64 s[16:17], s[16:17]
                                        ; implicit-def: $sgpr19
	s_xor_b64 exec, exec, s[16:17]
	s_cbranch_execz .LBB20_1969
.LBB20_2138:
	s_mov_b32 s19, 0x46000000
	v_add_f32_e64 v3, |v4|, s19
	v_and_b32_e32 v3, 0xff, v3
	v_cmp_ne_u32_e32 vcc, 0, v3
	s_andn2_b64 s[12:13], s[12:13], exec
	s_and_b64 s[20:21], vcc, exec
	s_mov_b32 s19, 0
	s_or_b64 s[12:13], s[12:13], s[20:21]
	s_or_b64 exec, exec, s[16:17]
	v_mov_b32_e32 v5, s19
	s_and_saveexec_b64 s[16:17], s[12:13]
	s_cbranch_execnz .LBB20_1970
	s_branch .LBB20_1971
.LBB20_2139:
	s_trap 2
	s_or_b64 s[14:15], s[14:15], exec
	s_cbranch_execz .LBB20_2017
	s_branch .LBB20_2018
.LBB20_2140:
	s_or_saveexec_b64 s[12:13], s[12:13]
                                        ; implicit-def: $sgpr16
	s_xor_b64 exec, exec, s[12:13]
	s_cbranch_execz .LBB20_1982
.LBB20_2141:
	s_mov_b32 s16, 0x42800000
	v_add_f32_e64 v3, |v4|, s16
	v_and_b32_e32 v3, 0xff, v3
	v_cmp_ne_u32_e32 vcc, 0, v3
	s_andn2_b64 s[10:11], s[10:11], exec
	s_and_b64 s[20:21], vcc, exec
	s_mov_b32 s16, 0
	s_or_b64 s[10:11], s[10:11], s[20:21]
	s_or_b64 exec, exec, s[12:13]
	v_mov_b32_e32 v5, s16
	s_and_saveexec_b64 s[12:13], s[10:11]
	s_cbranch_execnz .LBB20_1983
	s_branch .LBB20_1984
.LBB20_2142:
	s_or_saveexec_b64 s[12:13], s[12:13]
                                        ; implicit-def: $sgpr16
	s_xor_b64 exec, exec, s[12:13]
	s_cbranch_execz .LBB20_2088
.LBB20_2143:
	s_mov_b32 s16, 0x46000000
	v_add_f32_e64 v3, |v6|, s16
	v_and_b32_e32 v3, 0xff, v3
	v_cmp_ne_u32_e32 vcc, 0, v3
	s_andn2_b64 s[10:11], s[10:11], exec
	s_and_b64 s[18:19], vcc, exec
	s_mov_b32 s16, 0
	s_or_b64 s[10:11], s[10:11], s[18:19]
	s_or_b64 exec, exec, s[12:13]
	v_mov_b32_e32 v4, s16
	s_and_saveexec_b64 s[12:13], s[10:11]
	s_cbranch_execnz .LBB20_2089
	s_branch .LBB20_2090
.LBB20_2144:
	s_mov_b64 s[2:3], 0
	s_or_b64 s[14:15], s[14:15], exec
	s_trap 2
	s_branch .LBB20_2134
.LBB20_2145:
	s_or_saveexec_b64 s[10:11], s[10:11]
                                        ; implicit-def: $sgpr12
	s_xor_b64 exec, exec, s[10:11]
	s_cbranch_execz .LBB20_2100
.LBB20_2146:
	s_mov_b32 s12, 0x42800000
	v_add_f32_e64 v3, |v6|, s12
	v_and_b32_e32 v3, 0xff, v3
	v_cmp_ne_u32_e32 vcc, 0, v3
	s_andn2_b64 s[8:9], s[8:9], exec
	s_and_b64 s[16:17], vcc, exec
	s_mov_b32 s12, 0
	s_or_b64 s[8:9], s[8:9], s[16:17]
	s_or_b64 exec, exec, s[10:11]
	v_mov_b32_e32 v4, s12
	s_and_saveexec_b64 s[10:11], s[8:9]
	s_cbranch_execnz .LBB20_2101
	s_branch .LBB20_2102
	.section	.rodata,"a",@progbits
	.p2align	6, 0x0
	.amdhsa_kernel _ZN2at6native32elementwise_kernel_manual_unrollILi128ELi4EZNS0_15gpu_kernel_implIZZZNS0_12_GLOBAL__N_137scaled_modified_bessel_k0_kernel_cudaERNS_18TensorIteratorBaseEENKUlvE_clEvENKUlvE0_clEvEUlfE_EEvS5_RKT_EUlibE_EEviT1_
		.amdhsa_group_segment_fixed_size 0
		.amdhsa_private_segment_fixed_size 0
		.amdhsa_kernarg_size 40
		.amdhsa_user_sgpr_count 6
		.amdhsa_user_sgpr_private_segment_buffer 1
		.amdhsa_user_sgpr_dispatch_ptr 0
		.amdhsa_user_sgpr_queue_ptr 0
		.amdhsa_user_sgpr_kernarg_segment_ptr 1
		.amdhsa_user_sgpr_dispatch_id 0
		.amdhsa_user_sgpr_flat_scratch_init 0
		.amdhsa_user_sgpr_kernarg_preload_length 0
		.amdhsa_user_sgpr_kernarg_preload_offset 0
		.amdhsa_user_sgpr_private_segment_size 0
		.amdhsa_uses_dynamic_stack 0
		.amdhsa_system_sgpr_private_segment_wavefront_offset 0
		.amdhsa_system_sgpr_workgroup_id_x 1
		.amdhsa_system_sgpr_workgroup_id_y 0
		.amdhsa_system_sgpr_workgroup_id_z 0
		.amdhsa_system_sgpr_workgroup_info 0
		.amdhsa_system_vgpr_workitem_id 0
		.amdhsa_next_free_vgpr 16
		.amdhsa_next_free_sgpr 42
		.amdhsa_accum_offset 16
		.amdhsa_reserve_vcc 1
		.amdhsa_reserve_flat_scratch 0
		.amdhsa_float_round_mode_32 0
		.amdhsa_float_round_mode_16_64 0
		.amdhsa_float_denorm_mode_32 3
		.amdhsa_float_denorm_mode_16_64 3
		.amdhsa_dx10_clamp 1
		.amdhsa_ieee_mode 1
		.amdhsa_fp16_overflow 0
		.amdhsa_tg_split 0
		.amdhsa_exception_fp_ieee_invalid_op 0
		.amdhsa_exception_fp_denorm_src 0
		.amdhsa_exception_fp_ieee_div_zero 0
		.amdhsa_exception_fp_ieee_overflow 0
		.amdhsa_exception_fp_ieee_underflow 0
		.amdhsa_exception_fp_ieee_inexact 0
		.amdhsa_exception_int_div_zero 0
	.end_amdhsa_kernel
	.section	.text._ZN2at6native32elementwise_kernel_manual_unrollILi128ELi4EZNS0_15gpu_kernel_implIZZZNS0_12_GLOBAL__N_137scaled_modified_bessel_k0_kernel_cudaERNS_18TensorIteratorBaseEENKUlvE_clEvENKUlvE0_clEvEUlfE_EEvS5_RKT_EUlibE_EEviT1_,"axG",@progbits,_ZN2at6native32elementwise_kernel_manual_unrollILi128ELi4EZNS0_15gpu_kernel_implIZZZNS0_12_GLOBAL__N_137scaled_modified_bessel_k0_kernel_cudaERNS_18TensorIteratorBaseEENKUlvE_clEvENKUlvE0_clEvEUlfE_EEvS5_RKT_EUlibE_EEviT1_,comdat
.Lfunc_end20:
	.size	_ZN2at6native32elementwise_kernel_manual_unrollILi128ELi4EZNS0_15gpu_kernel_implIZZZNS0_12_GLOBAL__N_137scaled_modified_bessel_k0_kernel_cudaERNS_18TensorIteratorBaseEENKUlvE_clEvENKUlvE0_clEvEUlfE_EEvS5_RKT_EUlibE_EEviT1_, .Lfunc_end20-_ZN2at6native32elementwise_kernel_manual_unrollILi128ELi4EZNS0_15gpu_kernel_implIZZZNS0_12_GLOBAL__N_137scaled_modified_bessel_k0_kernel_cudaERNS_18TensorIteratorBaseEENKUlvE_clEvENKUlvE0_clEvEUlfE_EEvS5_RKT_EUlibE_EEviT1_
                                        ; -- End function
	.section	.AMDGPU.csdata,"",@progbits
; Kernel info:
; codeLenInByte = 53304
; NumSgprs: 46
; NumVgprs: 16
; NumAgprs: 0
; TotalNumVgprs: 16
; ScratchSize: 0
; MemoryBound: 1
; FloatMode: 240
; IeeeMode: 1
; LDSByteSize: 0 bytes/workgroup (compile time only)
; SGPRBlocks: 5
; VGPRBlocks: 1
; NumSGPRsForWavesPerEU: 46
; NumVGPRsForWavesPerEU: 16
; AccumOffset: 16
; Occupancy: 8
; WaveLimiterHint : 0
; COMPUTE_PGM_RSRC2:SCRATCH_EN: 0
; COMPUTE_PGM_RSRC2:USER_SGPR: 6
; COMPUTE_PGM_RSRC2:TRAP_HANDLER: 0
; COMPUTE_PGM_RSRC2:TGID_X_EN: 1
; COMPUTE_PGM_RSRC2:TGID_Y_EN: 0
; COMPUTE_PGM_RSRC2:TGID_Z_EN: 0
; COMPUTE_PGM_RSRC2:TIDIG_COMP_CNT: 0
; COMPUTE_PGM_RSRC3_GFX90A:ACCUM_OFFSET: 3
; COMPUTE_PGM_RSRC3_GFX90A:TG_SPLIT: 0
	.section	.text._ZN2at6native32elementwise_kernel_manual_unrollILi128ELi4EZNS0_15gpu_kernel_implIZZZNS0_12_GLOBAL__N_137scaled_modified_bessel_k0_kernel_cudaERNS_18TensorIteratorBaseEENKUlvE_clEvENKUlvE0_clEvEUlfE_EEvS5_RKT_EUlibE0_EEviT1_,"axG",@progbits,_ZN2at6native32elementwise_kernel_manual_unrollILi128ELi4EZNS0_15gpu_kernel_implIZZZNS0_12_GLOBAL__N_137scaled_modified_bessel_k0_kernel_cudaERNS_18TensorIteratorBaseEENKUlvE_clEvENKUlvE0_clEvEUlfE_EEvS5_RKT_EUlibE0_EEviT1_,comdat
	.globl	_ZN2at6native32elementwise_kernel_manual_unrollILi128ELi4EZNS0_15gpu_kernel_implIZZZNS0_12_GLOBAL__N_137scaled_modified_bessel_k0_kernel_cudaERNS_18TensorIteratorBaseEENKUlvE_clEvENKUlvE0_clEvEUlfE_EEvS5_RKT_EUlibE0_EEviT1_ ; -- Begin function _ZN2at6native32elementwise_kernel_manual_unrollILi128ELi4EZNS0_15gpu_kernel_implIZZZNS0_12_GLOBAL__N_137scaled_modified_bessel_k0_kernel_cudaERNS_18TensorIteratorBaseEENKUlvE_clEvENKUlvE0_clEvEUlfE_EEvS5_RKT_EUlibE0_EEviT1_
	.p2align	8
	.type	_ZN2at6native32elementwise_kernel_manual_unrollILi128ELi4EZNS0_15gpu_kernel_implIZZZNS0_12_GLOBAL__N_137scaled_modified_bessel_k0_kernel_cudaERNS_18TensorIteratorBaseEENKUlvE_clEvENKUlvE0_clEvEUlfE_EEvS5_RKT_EUlibE0_EEviT1_,@function
_ZN2at6native32elementwise_kernel_manual_unrollILi128ELi4EZNS0_15gpu_kernel_implIZZZNS0_12_GLOBAL__N_137scaled_modified_bessel_k0_kernel_cudaERNS_18TensorIteratorBaseEENKUlvE_clEvENKUlvE0_clEvEUlfE_EEvS5_RKT_EUlibE0_EEviT1_: ; @_ZN2at6native32elementwise_kernel_manual_unrollILi128ELi4EZNS0_15gpu_kernel_implIZZZNS0_12_GLOBAL__N_137scaled_modified_bessel_k0_kernel_cudaERNS_18TensorIteratorBaseEENKUlvE_clEvENKUlvE0_clEvEUlfE_EEvS5_RKT_EUlibE0_EEviT1_
; %bb.0:
	s_load_dword s72, s[4:5], 0x0
	s_load_dword s33, s[4:5], 0x8
	s_or_b32 s34, s4, 8
	v_lshl_or_b32 v13, s6, 9, v0
	v_or_b32_e32 v16, 0x180, v13
	s_mov_b32 s35, s5
	s_waitcnt lgkmcnt(0)
	s_add_i32 s74, s33, -1
	s_cmp_gt_u32 s74, 1
	v_cmp_le_i32_e32 vcc, s72, v16
	s_cselect_b64 s[40:41], -1, 0
	s_mov_b64 s[6:7], 0
	s_mov_b64 s[28:29], 0
	s_and_saveexec_b64 s[0:1], vcc
	s_xor_b64 s[42:43], exec, s[0:1]
	s_cbranch_execz .LBB21_1138
; %bb.1:
	v_mov_b32_e32 v0, 0
	global_load_ushort v6, v0, s[34:35] offset:345
	s_load_dwordx4 s[36:39], s[34:35], 0x4
	s_load_dwordx2 s[44:45], s[34:35], 0x14
	s_load_dwordx4 s[28:31], s[34:35], 0xc4
	s_load_dwordx4 s[24:27], s[34:35], 0x148
	s_cmp_lg_u32 s33, 0
	s_cselect_b64 s[50:51], -1, 0
	s_add_u32 s48, s34, 0xc4
	s_addc_u32 s49, s35, 0
	s_min_u32 s73, s74, 15
	s_cmp_gt_u32 s33, 1
	v_cmp_gt_i32_e32 vcc, s72, v13
	s_mov_b64 s[2:3], -1
	s_mov_b64 s[60:61], 0
	s_mov_b64 s[54:55], 0
	s_cselect_b64 s[46:47], -1, 0
	s_mov_b64 s[52:53], 0
	s_waitcnt vmcnt(0)
	v_lshrrev_b16_e32 v4, 8, v6
	s_and_saveexec_b64 s[56:57], vcc
	s_cbranch_execz .LBB21_279
; %bb.2:
	s_andn2_b64 vcc, exec, s[40:41]
	s_cbranch_vccnz .LBB21_8
; %bb.3:
	s_mov_b32 s52, 0
	s_andn2_b64 vcc, exec, s[50:51]
	v_mov_b32_e32 v2, 0
	v_mov_b32_e32 v0, 0
	s_cbranch_vccnz .LBB21_14
; %bb.4:
	s_add_i32 s62, s73, 1
	s_cmp_eq_u32 s74, 2
	s_cbranch_scc1 .LBB21_9
; %bb.5:
	s_and_b32 s52, s62, 28
	s_mov_b32 s53, 0
	v_mov_b32_e32 v0, 0
	s_mov_b64 s[54:55], s[34:35]
	s_mov_b64 s[58:59], s[48:49]
	v_mov_b32_e32 v3, v13
	v_mov_b32_e32 v2, 0
.LBB21_6:                               ; =>This Inner Loop Header: Depth=1
	s_load_dwordx8 s[16:23], s[54:55], 0x4
	s_load_dwordx4 s[0:3], s[54:55], 0x24
	s_load_dwordx8 s[8:15], s[58:59], 0x0
	s_add_u32 s54, s54, 48
	s_addc_u32 s55, s55, 0
	s_waitcnt lgkmcnt(0)
	v_mul_hi_u32 v1, s17, v3
	v_add_u32_e32 v1, v3, v1
	v_lshrrev_b32_e32 v1, s18, v1
	v_mul_lo_u32 v5, v1, s16
	v_mul_hi_u32 v7, s20, v1
	v_sub_u32_e32 v3, v3, v5
	v_add_u32_e32 v5, v1, v7
	v_lshrrev_b32_e32 v5, s21, v5
	v_mul_lo_u32 v8, v5, s19
	v_mul_hi_u32 v9, s23, v5
	v_sub_u32_e32 v1, v1, v8
	v_add_u32_e32 v8, v5, v9
	v_mul_lo_u32 v7, v3, s9
	v_mul_lo_u32 v3, v3, s8
	;; [unrolled: 1-line block ×4, first 2 shown]
	v_lshrrev_b32_e32 v8, s0, v8
	v_add3_u32 v0, v3, v0, v1
	v_mul_hi_u32 v3, s2, v8
	v_add_u32_e32 v3, v8, v3
	v_lshrrev_b32_e32 v3, s3, v3
	s_add_i32 s53, s53, 4
	v_add3_u32 v1, v7, v2, v9
	v_mul_lo_u32 v2, v8, s22
	v_mul_lo_u32 v7, v3, s1
	s_add_u32 s58, s58, 32
	v_sub_u32_e32 v2, v5, v2
	v_sub_u32_e32 v7, v8, v7
	s_addc_u32 s59, s59, 0
	v_mul_lo_u32 v5, v2, s12
	v_mul_lo_u32 v2, v2, s13
	;; [unrolled: 1-line block ×4, first 2 shown]
	s_cmp_lg_u32 s52, s53
	v_add3_u32 v2, v2, v1, v7
	v_add3_u32 v0, v5, v0, v8
	s_cbranch_scc1 .LBB21_6
; %bb.7:
	v_mov_b32_e32 v1, v2
	s_branch .LBB21_10
.LBB21_8:
                                        ; implicit-def: $vgpr2
                                        ; implicit-def: $vgpr0
	s_branch .LBB21_15
.LBB21_9:
	s_mov_b32 s53, s52
	v_pk_mov_b32 v[0:1], s[52:53], s[52:53] op_sel:[0,1]
                                        ; implicit-def: $vgpr2
	v_mov_b32_e32 v3, v13
.LBB21_10:
	s_and_b32 s8, s62, 3
	s_cmp_eq_u32 s8, 0
	s_cbranch_scc1 .LBB21_14
; %bb.11:
	s_lshl_b32 s0, s52, 3
	s_add_u32 s0, s0, s34
	s_addc_u32 s1, s35, 0
	s_add_u32 s0, s0, 0xc4
	s_addc_u32 s1, s1, 0
	s_mul_i32 s2, s52, 12
	s_add_u32 s2, s34, s2
	s_addc_u32 s3, s35, 0
.LBB21_12:                              ; =>This Inner Loop Header: Depth=1
	s_load_dwordx2 s[10:11], s[2:3], 0x4
	s_load_dword s9, s[2:3], 0xc
	s_load_dwordx2 s[12:13], s[0:1], 0x0
	v_mov_b32_e32 v2, v1
	s_add_u32 s2, s2, 12
	s_waitcnt lgkmcnt(0)
	v_mul_hi_u32 v1, s11, v3
	v_add_u32_e32 v1, v3, v1
	v_lshrrev_b32_e32 v1, s9, v1
	s_addc_u32 s3, s3, 0
	v_mul_lo_u32 v5, v1, s10
	s_add_u32 s0, s0, 8
	v_sub_u32_e32 v5, v3, v5
	v_mov_b32_e32 v3, v1
	s_addc_u32 s1, s1, 0
	s_add_i32 s8, s8, -1
	v_mad_u64_u32 v[8:9], s[10:11], v5, s13, v[2:3]
	v_mad_u64_u32 v[0:1], s[10:11], v5, s12, v[0:1]
	s_cmp_lg_u32 s8, 0
	v_mov_b32_e32 v1, v8
	s_cbranch_scc1 .LBB21_12
; %bb.13:
	v_mov_b32_e32 v2, v1
.LBB21_14:
	s_cbranch_execnz .LBB21_17
.LBB21_15:
	s_waitcnt lgkmcnt(0)
	v_mul_hi_u32 v0, s37, v13
	v_add_u32_e32 v0, v13, v0
	v_lshrrev_b32_e32 v1, s38, v0
	v_mul_lo_u32 v0, v1, s36
	v_sub_u32_e32 v0, v13, v0
	v_mul_lo_u32 v2, v0, s29
	s_andn2_b64 vcc, exec, s[46:47]
	v_mul_lo_u32 v0, v0, s28
	s_cbranch_vccnz .LBB21_17
; %bb.16:
	v_mul_hi_u32 v3, s44, v1
	v_add_u32_e32 v3, v1, v3
	v_lshrrev_b32_e32 v3, s45, v3
	v_mul_lo_u32 v3, v3, s39
	v_sub_u32_e32 v3, v1, v3
	v_mad_u64_u32 v[0:1], s[0:1], v3, s30, v[0:1]
	v_mad_u64_u32 v[2:3], s[0:1], v3, s31, v[2:3]
.LBB21_17:
	s_waitcnt lgkmcnt(0)
	v_mov_b32_e32 v1, s27
	v_add_co_u32_e32 v2, vcc, s26, v2
	v_addc_co_u32_e32 v3, vcc, 0, v1, vcc
	v_cmp_gt_i16_e32 vcc, 11, v4
	s_cbranch_vccnz .LBB21_24
; %bb.18:
	v_cmp_lt_i16_e32 vcc, 25, v4
	s_cbranch_vccz .LBB21_45
; %bb.19:
	v_cmp_lt_i16_e32 vcc, 28, v4
	s_cbranch_vccz .LBB21_48
	;; [unrolled: 3-line block ×4, first 2 shown]
; %bb.22:
	v_cmp_eq_u16_e32 vcc, 46, v4
	s_mov_b64 s[8:9], 0
	s_cbranch_vccz .LBB21_54
; %bb.23:
	global_load_dword v1, v[2:3], off
	s_mov_b64 s[0:1], -1
	s_mov_b64 s[2:3], 0
	s_waitcnt vmcnt(0)
	v_lshlrev_b32_e32 v1, 16, v1
	s_branch .LBB21_56
.LBB21_24:
	s_mov_b64 s[2:3], 0
                                        ; implicit-def: $vgpr1
	s_mov_b64 s[0:1], 0
	s_cbranch_execnz .LBB21_229
.LBB21_25:
	s_andn2_b64 vcc, exec, s[0:1]
	s_cbranch_vccnz .LBB21_276
.LBB21_26:
	s_waitcnt vmcnt(0)
	v_cmp_neq_f32_e32 vcc, 0, v1
	v_mov_b32_e32 v2, 0x7f800000
	s_and_saveexec_b64 s[8:9], vcc
	s_cbranch_execz .LBB21_38
; %bb.27:
	v_cmp_ngt_f32_e32 vcc, 0, v1
	v_mov_b32_e32 v2, 0x7fc00000
	s_and_saveexec_b64 s[10:11], vcc
	s_cbranch_execz .LBB21_37
; %bb.28:
	v_cmp_ge_f32_e32 vcc, 2.0, v1
                                        ; implicit-def: $vgpr2
	s_and_saveexec_b64 s[0:1], vcc
	s_xor_b64 s[12:13], exec, s[0:1]
	s_cbranch_execz .LBB21_34
; %bb.29:
	s_mov_b32 s0, 0x41000000
	v_mul_f32_e32 v2, 0.5, v1
	v_cmp_ge_f32_e32 vcc, s0, v1
                                        ; implicit-def: $vgpr5
                                        ; implicit-def: $vgpr3
	s_and_saveexec_b64 s[0:1], vcc
	s_xor_b64 s[0:1], exec, s[0:1]
	s_cbranch_execz .LBB21_31
; %bb.30:
	v_add_f32_e32 v3, -2.0, v2
	v_mov_b32_e32 v5, 0x24199b15
	v_fmac_f32_e32 v5, 0xa2a2e5b9, v3
	v_mov_b32_e32 v7, 0x22a2e5b9
	v_fmac_f32_e32 v7, v3, v5
	v_add_f32_e32 v7, 0xa58c275c, v7
	v_fma_f32 v5, v3, v7, -v5
	v_add_f32_e32 v5, 0x26f736c5, v5
	v_fma_f32 v7, v3, v5, -v7
	;; [unrolled: 2-line block ×23, first 2 shown]
	v_mul_f32_e32 v8, 0x3fb8aa3b, v1
	v_add_f32_e32 v5, 0x3d49f456, v5
	s_mov_b32 s14, 0x3fb8aa3b
	v_rndne_f32_e32 v9, v8
	v_fma_f32 v7, v3, v5, -v7
	v_sub_f32_e32 v10, v8, v9
	v_fma_f32 v8, v1, s14, -v8
	v_add_f32_e32 v7, 0xbdc25b82, v7
	v_fmac_f32_e32 v8, 0x32a5705f, v1
	v_fma_f32 v5, v3, v7, -v5
	v_add_f32_e32 v8, v10, v8
	v_add_f32_e32 v5, 0x3e2fbd64, v5
	v_exp_f32_e32 v8, v8
	v_cvt_i32_f32_e32 v9, v9
	v_fma_f32 v7, v3, v5, -v7
	v_add_f32_e32 v7, 0xbe9bff5e, v7
	v_fma_f32 v3, v3, v7, -v5
	s_mov_b32 s14, 0xc2ce8ed0
	v_add_f32_e32 v7, 0x3f2d4275, v3
	v_ldexp_f32 v3, v8, v9
	v_cmp_ngt_f32_e32 vcc, s14, v1
	s_mov_b32 s14, 0x42b17218
	v_cndmask_b32_e32 v3, 0, v3, vcc
	v_mov_b32_e32 v8, 0x7f800000
	v_cmp_nlt_f32_e32 vcc, s14, v1
	v_sub_f32_e32 v5, v7, v5
	v_cndmask_b32_e32 v3, v8, v3, vcc
	v_mul_f32_e32 v5, 0.5, v5
	v_mul_f32_e32 v5, v3, v5
.LBB21_31:
	s_andn2_saveexec_b64 s[14:15], s[0:1]
	s_cbranch_execz .LBB21_33
; %bb.32:
	s_mov_b32 s16, 0x42000000
	v_div_scale_f32 v3, s[0:1], v1, v1, s16
	v_rcp_f32_e32 v5, v3
	v_div_scale_f32 v7, vcc, s16, v1, s16
	s_mov_b32 s0, 0x3fb8aa3b
	v_fma_f32 v8, -v3, v5, 1.0
	v_fmac_f32_e32 v5, v8, v5
	v_mul_f32_e32 v8, v7, v5
	v_fma_f32 v9, -v3, v8, v7
	v_fmac_f32_e32 v8, v9, v5
	v_fma_f32 v3, -v3, v8, v7
	v_div_fmas_f32 v3, v3, v5, v8
	v_div_fixup_f32 v3, v3, v1, s16
	v_add_f32_e32 v3, -2.0, v3
	v_mov_b32_e32 v5, 0xa2b236d3
	v_fmac_f32_e32 v5, 0xa3056dbb, v3
	v_mov_b32_e32 v7, 0x23056dbb
	v_fmac_f32_e32 v7, v3, v5
	v_add_f32_e32 v7, 0x244df0c1, v7
	v_fma_f32 v5, v3, v7, -v5
	v_add_f32_e32 v5, 0x241f9ee8, v5
	v_fma_f32 v7, v3, v5, -v7
	;; [unrolled: 2-line block ×18, first 2 shown]
	v_mul_f32_e32 v8, 0x3fb8aa3b, v1
	v_add_f32_e32 v7, 0x345c003f, v7
	v_rndne_f32_e32 v9, v8
	v_fma_f32 v5, v3, v7, -v5
	v_sub_f32_e32 v10, v8, v9
	v_fma_f32 v8, v1, s0, -v8
	v_add_f32_e32 v5, 0x3642095e, v5
	v_fmac_f32_e32 v8, 0x32a5705f, v1
	v_fma_f32 v7, v3, v5, -v7
	v_add_f32_e32 v8, v10, v8
	v_add_f32_e32 v7, 0x38907d1c, v7
	v_exp_f32_e32 v8, v8
	v_cvt_i32_f32_e32 v9, v9
	v_fma_f32 v5, v3, v7, -v5
	v_add_f32_e32 v5, 0x3b5ccc65, v5
	v_fma_f32 v3, v3, v5, -v7
	s_mov_b32 s0, 0xc2ce8ed0
	v_add_f32_e32 v5, 0x3f4df315, v3
	v_ldexp_f32 v3, v8, v9
	v_cmp_ngt_f32_e32 vcc, s0, v1
	s_mov_b32 s0, 0x42b17218
	v_cndmask_b32_e32 v3, 0, v3, vcc
	v_mov_b32_e32 v8, 0x7f800000
	v_cmp_nlt_f32_e32 vcc, s0, v1
	s_mov_b32 s0, 0xf800000
	v_cndmask_b32_e32 v3, v8, v3, vcc
	v_mul_f32_e32 v8, 0x4f800000, v1
	v_cmp_gt_f32_e32 vcc, s0, v1
	v_cndmask_b32_e32 v8, v1, v8, vcc
	v_sqrt_f32_e32 v9, v8
	v_sub_f32_e32 v5, v5, v7
	v_mul_f32_e32 v5, 0.5, v5
	v_mul_f32_e32 v5, v3, v5
	v_add_u32_e32 v7, -1, v9
	v_fma_f32 v10, -v7, v9, v8
	v_cmp_ge_f32_e64 s[0:1], 0, v10
	v_add_u32_e32 v10, 1, v9
	v_cndmask_b32_e64 v7, v9, v7, s[0:1]
	v_fma_f32 v9, -v10, v9, v8
	v_cmp_lt_f32_e64 s[0:1], 0, v9
	v_cndmask_b32_e64 v7, v7, v10, s[0:1]
	v_mul_f32_e32 v9, 0x37800000, v7
	v_cndmask_b32_e32 v7, v7, v9, vcc
	v_mov_b32_e32 v9, 0x260
	v_cmp_class_f32_e32 vcc, v8, v9
	v_cndmask_b32_e32 v7, v7, v8, vcc
	v_div_scale_f32 v8, s[0:1], v7, v7, v5
	v_rcp_f32_e32 v9, v8
	v_fma_f32 v10, -v8, v9, 1.0
	v_fmac_f32_e32 v9, v10, v9
	v_div_scale_f32 v10, vcc, v5, v7, v5
	v_mul_f32_e32 v11, v10, v9
	v_fma_f32 v12, -v8, v11, v10
	v_fmac_f32_e32 v11, v12, v9
	v_fma_f32 v8, -v8, v11, v10
	v_div_fmas_f32 v8, v8, v9, v11
	v_div_fixup_f32 v5, v8, v7, v5
.LBB21_33:
	s_or_b64 exec, exec, s[14:15]
	v_fma_f32 v1, v1, v1, -2.0
	v_mov_b32_e32 v7, 0x293fd856
	v_fmac_f32_e32 v7, 0x251e770f, v1
	v_mov_b32_e32 v8, 0xa51e770f
	v_fmac_f32_e32 v8, v1, v7
	v_add_f32_e32 v8, 0x2d3612e2, v8
	v_fma_f32 v7, v1, v8, -v7
	v_add_f32_e32 v7, 0x3102e09b, v7
	v_fma_f32 v8, v1, v7, -v8
	;; [unrolled: 2-line block ×6, first 2 shown]
	v_add_f32_e32 v8, 0x3eb046c4, v8
	s_mov_b32 s0, 0x800000
	v_fma_f32 v1, v1, v8, -v7
	v_mov_b32_e32 v8, 0x4f800000
	v_cmp_gt_f32_e32 vcc, s0, v2
	v_cndmask_b32_e32 v8, 1.0, v8, vcc
	v_mul_f32_e32 v2, v2, v8
	v_log_f32_e32 v2, v2
	v_add_f32_e32 v1, 0xbf090b37, v1
	v_sub_f32_e32 v1, v1, v7
	s_mov_b32 s0, 0x3f317217
	v_mul_f32_e32 v7, 0x3f317217, v2
	v_fma_f32 v8, v2, s0, -v7
	v_fmac_f32_e32 v8, 0x3377d1cf, v2
	s_mov_b32 s0, 0x7f800000
	v_add_f32_e32 v7, v7, v8
	v_cmp_lt_f32_e64 s[0:1], |v2|, s0
	v_cndmask_b32_e64 v2, v2, v7, s[0:1]
	v_mov_b32_e32 v7, 0x41b17218
	v_cndmask_b32_e32 v7, 0, v7, vcc
	v_sub_f32_e32 v2, v2, v7
	v_mul_f32_e32 v2, v2, v5
	v_fma_f32 v1, v1, 0.5, -v2
	v_mul_f32_e32 v2, v3, v1
                                        ; implicit-def: $vgpr1
.LBB21_34:
	s_andn2_saveexec_b64 s[12:13], s[12:13]
	s_cbranch_execz .LBB21_36
; %bb.35:
	s_mov_b32 s14, 0x41000000
	v_div_scale_f32 v2, s[0:1], v1, v1, s14
	v_rcp_f32_e32 v3, v2
	v_div_scale_f32 v5, vcc, s14, v1, s14
	s_mov_b32 s0, 0xf800000
	v_fma_f32 v7, -v2, v3, 1.0
	v_fmac_f32_e32 v3, v7, v3
	v_mul_f32_e32 v7, v5, v3
	v_fma_f32 v8, -v2, v7, v5
	v_fmac_f32_e32 v7, v8, v3
	v_fma_f32 v2, -v2, v7, v5
	v_div_fmas_f32 v2, v2, v3, v7
	v_div_fixup_f32 v2, v2, v1, s14
	v_add_f32_e32 v2, -2.0, v2
	v_mov_b32_e32 v3, 0xa397f665
	v_fmac_f32_e32 v3, 0x22c38d2e, v2
	v_mov_b32_e32 v5, 0xa2c38d2e
	v_fmac_f32_e32 v5, v2, v3
	v_add_f32_e32 v5, 0x24704972, v5
	v_fma_f32 v3, v2, v5, -v3
	v_add_f32_e32 v3, 0xa5417ca4, v3
	v_fma_f32 v5, v2, v3, -v5
	;; [unrolled: 2-line block ×22, first 2 shown]
	v_mul_f32_e32 v3, 0x4f800000, v1
	v_cmp_gt_f32_e32 vcc, s0, v1
	v_cndmask_b32_e32 v1, v1, v3, vcc
	v_sqrt_f32_e32 v3, v1
	v_add_f32_e32 v2, 0x401c2ded, v2
	v_sub_f32_e32 v2, v2, v5
	v_mul_f32_e32 v2, 0.5, v2
	v_add_u32_e32 v5, -1, v3
	v_fma_f32 v7, -v5, v3, v1
	v_cmp_ge_f32_e64 s[0:1], 0, v7
	v_add_u32_e32 v7, 1, v3
	v_cndmask_b32_e64 v5, v3, v5, s[0:1]
	v_fma_f32 v3, -v7, v3, v1
	v_cmp_lt_f32_e64 s[0:1], 0, v3
	v_cndmask_b32_e64 v3, v5, v7, s[0:1]
	v_mul_f32_e32 v5, 0x37800000, v3
	v_cndmask_b32_e32 v3, v3, v5, vcc
	v_mov_b32_e32 v5, 0x260
	v_cmp_class_f32_e32 vcc, v1, v5
	v_cndmask_b32_e32 v1, v3, v1, vcc
	v_div_scale_f32 v3, s[0:1], v1, v1, v2
	v_rcp_f32_e32 v5, v3
	v_fma_f32 v7, -v3, v5, 1.0
	v_fmac_f32_e32 v5, v7, v5
	v_div_scale_f32 v7, vcc, v2, v1, v2
	v_mul_f32_e32 v8, v7, v5
	v_fma_f32 v9, -v3, v8, v7
	v_fmac_f32_e32 v8, v9, v5
	v_fma_f32 v3, -v3, v8, v7
	v_div_fmas_f32 v3, v3, v5, v8
	v_div_fixup_f32 v2, v3, v1, v2
.LBB21_36:
	s_or_b64 exec, exec, s[12:13]
.LBB21_37:
	s_or_b64 exec, exec, s[10:11]
.LBB21_38:
	s_or_b64 exec, exec, s[8:9]
	v_mov_b32_e32 v1, s25
	v_add_co_u32_e32 v0, vcc, s24, v0
	v_mov_b32_e32 v3, 11
	v_addc_co_u32_e32 v1, vcc, 0, v1, vcc
	v_cmp_lt_i16_sdwa s[0:1], v6, v3 src0_sel:BYTE_0 src1_sel:DWORD
	s_and_b64 vcc, exec, s[0:1]
	s_cbranch_vccnz .LBB21_46
; %bb.39:
	v_mov_b32_e32 v3, 25
	v_cmp_gt_i16_sdwa s[0:1], v6, v3 src0_sel:BYTE_0 src1_sel:DWORD
	s_and_b64 vcc, exec, s[0:1]
	s_cbranch_vccz .LBB21_49
; %bb.40:
	v_mov_b32_e32 v3, 28
	v_cmp_gt_i16_sdwa s[0:1], v6, v3 src0_sel:BYTE_0 src1_sel:DWORD
	s_and_b64 vcc, exec, s[0:1]
	s_cbranch_vccz .LBB21_51
	;; [unrolled: 5-line block ×4, first 2 shown]
; %bb.43:
	v_mov_b32_e32 v3, 46
	v_cmp_eq_u16_sdwa s[8:9], v6, v3 src0_sel:BYTE_0 src1_sel:DWORD
	s_mov_b64 s[10:11], 0
	s_mov_b64 s[0:1], -1
	s_and_b64 vcc, exec, s[8:9]
	s_mov_b64 s[8:9], 0
	s_cbranch_vccz .LBB21_60
; %bb.44:
	v_bfe_u32 v3, v2, 16, 1
	s_movk_i32 s0, 0x7fff
	v_add3_u32 v3, v2, v3, s0
	v_lshrrev_b32_e32 v3, 16, v3
	v_mov_b32_e32 v5, 0x7fc0
	v_cmp_o_f32_e32 vcc, v2, v2
	v_cndmask_b32_e32 v3, v5, v3, vcc
	global_store_dword v[0:1], v3, off
	s_mov_b64 s[8:9], -1
	s_mov_b64 s[0:1], 0
	s_branch .LBB21_60
.LBB21_45:
	s_mov_b64 s[2:3], 0
	s_mov_b64 s[0:1], 0
                                        ; implicit-def: $vgpr1
	s_cbranch_execnz .LBB21_194
	s_branch .LBB21_228
.LBB21_46:
	s_mov_b64 s[0:1], 0
	s_mov_b64 s[8:9], 0
	s_cbranch_execnz .LBB21_129
.LBB21_47:
	s_andn2_b64 vcc, exec, s[8:9]
	s_cbranch_vccnz .LBB21_277
	s_branch .LBB21_167
.LBB21_48:
	s_mov_b64 s[8:9], -1
	s_mov_b64 s[2:3], 0
	s_mov_b64 s[0:1], 0
                                        ; implicit-def: $vgpr1
	s_branch .LBB21_175
.LBB21_49:
	s_mov_b64 s[10:11], -1
	s_mov_b64 s[0:1], 0
	s_mov_b64 s[8:9], 0
	s_branch .LBB21_87
.LBB21_50:
	s_mov_b64 s[8:9], -1
	s_mov_b64 s[2:3], 0
	s_mov_b64 s[0:1], 0
                                        ; implicit-def: $vgpr1
	s_branch .LBB21_170
.LBB21_51:
	s_mov_b64 s[10:11], -1
	s_mov_b64 s[0:1], 0
	s_mov_b64 s[8:9], 0
	s_branch .LBB21_70
.LBB21_52:
	s_mov_b64 s[8:9], -1
	s_mov_b64 s[2:3], 0
	s_branch .LBB21_55
.LBB21_53:
	s_mov_b64 s[10:11], -1
	s_mov_b64 s[0:1], 0
	s_mov_b64 s[8:9], 0
	s_branch .LBB21_66
.LBB21_54:
	s_mov_b64 s[2:3], -1
.LBB21_55:
	s_mov_b64 s[0:1], 0
                                        ; implicit-def: $vgpr1
.LBB21_56:
	s_and_b64 vcc, exec, s[8:9]
	s_cbranch_vccz .LBB21_169
; %bb.57:
	v_cmp_eq_u16_e32 vcc, 44, v4
	s_cbranch_vccz .LBB21_168
; %bb.58:
	global_load_ubyte v1, v[2:3], off
	s_movk_i32 s2, 0xff
	v_mov_b32_e32 v5, 0x7f800001
	v_mov_b32_e32 v7, 0x400000
	s_mov_b64 s[0:1], -1
	s_waitcnt vmcnt(0)
	v_lshlrev_b32_e32 v8, 23, v1
	v_cmp_ne_u32_e32 vcc, s2, v1
	v_cndmask_b32_e32 v5, v5, v8, vcc
	v_cmp_ne_u32_e32 vcc, 0, v1
	v_cndmask_b32_e32 v1, v7, v5, vcc
	s_mov_b64 s[2:3], 0
	s_branch .LBB21_169
.LBB21_59:
	s_mov_b64 s[10:11], -1
	s_mov_b64 s[0:1], 0
	s_mov_b64 s[8:9], 0
.LBB21_60:
	s_and_b64 vcc, exec, s[10:11]
	s_cbranch_vccz .LBB21_65
; %bb.61:
	v_mov_b32_e32 v3, 44
	v_cmp_eq_u16_sdwa s[10:11], v6, v3 src0_sel:BYTE_0 src1_sel:DWORD
	s_mov_b64 s[0:1], -1
	s_and_b64 vcc, exec, s[10:11]
	s_cbranch_vccz .LBB21_65
; %bb.62:
	v_bfe_u32 v3, v2, 23, 8
	s_movk_i32 s0, 0xff
	v_cmp_ne_u32_e32 vcc, s0, v3
	v_mov_b32_e32 v5, 0xff
	s_and_saveexec_b64 s[8:9], vcc
; %bb.63:
	s_mov_b32 s0, 0x3fffff
	v_and_b32_e32 v7, 0x400000, v2
	v_and_or_b32 v3, v2, s0, v3
	v_cmp_ne_u32_e32 vcc, 0, v7
	v_cmp_ne_u32_e64 s[0:1], 0, v3
	s_and_b64 s[0:1], vcc, s[0:1]
	v_lshrrev_b32_e32 v5, 23, v2
	v_cndmask_b32_e64 v3, 0, 1, s[0:1]
	v_add_u32_e32 v5, v5, v3
; %bb.64:
	s_or_b64 exec, exec, s[8:9]
	s_mov_b64 s[8:9], -1
	s_mov_b64 s[0:1], 0
	global_store_byte v[0:1], v5, off
.LBB21_65:
	s_mov_b64 s[10:11], 0
.LBB21_66:
	s_and_b64 vcc, exec, s[10:11]
	s_cbranch_vccz .LBB21_69
; %bb.67:
	v_mov_b32_e32 v3, 29
	v_cmp_eq_u16_sdwa s[10:11], v6, v3 src0_sel:BYTE_0 src1_sel:DWORD
	s_mov_b64 s[0:1], -1
	s_and_b64 vcc, exec, s[10:11]
	s_cbranch_vccz .LBB21_69
; %bb.68:
	v_trunc_f32_e32 v3, v2
	v_mul_f32_e32 v5, 0x2f800000, v3
	v_floor_f32_e32 v5, v5
	v_fmac_f32_e32 v3, 0xcf800000, v5
	v_cvt_u32_f32_e32 v9, v5
	v_cvt_u32_f32_e32 v8, v3
	s_mov_b64 s[8:9], -1
	s_mov_b64 s[0:1], 0
	s_mov_b64 s[10:11], 0
	global_store_dwordx2 v[0:1], v[8:9], off
	s_branch .LBB21_70
.LBB21_69:
	s_mov_b64 s[10:11], 0
.LBB21_70:
	s_and_b64 vcc, exec, s[10:11]
	s_cbranch_vccz .LBB21_86
; %bb.71:
	v_mov_b32_e32 v3, 27
	v_cmp_lt_i16_sdwa s[10:11], v6, v3 src0_sel:BYTE_0 src1_sel:DWORD
	s_mov_b64 s[8:9], -1
	s_and_b64 vcc, exec, s[10:11]
	s_cbranch_vccnz .LBB21_77
; %bb.72:
	v_cmp_gt_i16_sdwa s[10:11], v6, v3 src0_sel:BYTE_0 src1_sel:DWORD
	v_cvt_u32_f32_e32 v3, v2
	s_and_b64 vcc, exec, s[10:11]
	s_cbranch_vccz .LBB21_74
; %bb.73:
	s_mov_b64 s[8:9], 0
	global_store_dword v[0:1], v3, off
.LBB21_74:
	s_andn2_b64 vcc, exec, s[8:9]
	s_cbranch_vccnz .LBB21_76
; %bb.75:
	global_store_short v[0:1], v3, off
.LBB21_76:
	s_mov_b64 s[8:9], 0
.LBB21_77:
	s_andn2_b64 vcc, exec, s[8:9]
	s_cbranch_vccnz .LBB21_85
; %bb.78:
	v_and_b32_e32 v3, 0x7fffffff, v2
	s_mov_b32 s8, 0x43800000
	v_cmp_gt_u32_e32 vcc, s8, v3
	v_mov_b32_e32 v5, 0x80
	s_and_saveexec_b64 s[8:9], vcc
	s_cbranch_execz .LBB21_84
; %bb.79:
	s_mov_b32 s10, 0x3bffffff
	v_cmp_lt_u32_e32 vcc, s10, v3
	s_mov_b64 s[10:11], 0
                                        ; implicit-def: $vgpr3
	s_and_saveexec_b64 s[12:13], vcc
	s_xor_b64 s[12:13], exec, s[12:13]
	s_cbranch_execz .LBB21_333
; %bb.80:
	v_bfe_u32 v3, v2, 20, 1
	s_mov_b32 s14, 0x487ffff
	v_add3_u32 v3, v2, v3, s14
	s_mov_b64 s[10:11], exec
	v_lshrrev_b32_e32 v3, 20, v3
	s_or_saveexec_b64 s[12:13], s[12:13]
                                        ; implicit-def: $sgpr14
	s_xor_b64 exec, exec, s[12:13]
	s_cbranch_execnz .LBB21_334
.LBB21_81:
	s_or_b64 exec, exec, s[12:13]
	v_mov_b32_e32 v5, s14
	s_and_saveexec_b64 s[12:13], s[10:11]
.LBB21_82:
	v_lshrrev_b32_e32 v5, 24, v2
	s_movk_i32 s10, 0x80
	v_and_or_b32 v5, v5, s10, v3
.LBB21_83:
	s_or_b64 exec, exec, s[12:13]
.LBB21_84:
	s_or_b64 exec, exec, s[8:9]
	global_store_byte v[0:1], v5, off
.LBB21_85:
	s_mov_b64 s[8:9], -1
.LBB21_86:
	s_mov_b64 s[10:11], 0
.LBB21_87:
	s_and_b64 vcc, exec, s[10:11]
	s_cbranch_vccz .LBB21_128
; %bb.88:
	v_mov_b32_e32 v3, 22
	v_cmp_gt_i16_sdwa s[12:13], v6, v3 src0_sel:BYTE_0 src1_sel:DWORD
	s_mov_b64 s[10:11], -1
	s_and_b64 vcc, exec, s[12:13]
	s_cbranch_vccz .LBB21_120
; %bb.89:
	v_mov_b32_e32 v3, 24
	v_cmp_lt_i16_sdwa s[10:11], v6, v3 src0_sel:BYTE_0 src1_sel:DWORD
	s_mov_b64 s[8:9], -1
	s_and_b64 vcc, exec, s[10:11]
	s_cbranch_vccnz .LBB21_109
; %bb.90:
	v_cmp_gt_i16_sdwa s[10:11], v6, v3 src0_sel:BYTE_0 src1_sel:DWORD
	s_and_b64 vcc, exec, s[10:11]
	s_cbranch_vccz .LBB21_98
; %bb.91:
	v_and_b32_e32 v3, 0x7fffffff, v2
	s_mov_b32 s8, 0x47800000
	v_cmp_gt_u32_e32 vcc, s8, v3
	v_mov_b32_e32 v5, 0x80
	s_and_saveexec_b64 s[8:9], vcc
	s_cbranch_execz .LBB21_97
; %bb.92:
	s_mov_b32 s10, 0x37ffffff
	v_cmp_lt_u32_e32 vcc, s10, v3
	s_mov_b64 s[10:11], 0
                                        ; implicit-def: $vgpr3
	s_and_saveexec_b64 s[12:13], vcc
	s_xor_b64 s[12:13], exec, s[12:13]
	s_cbranch_execz .LBB21_337
; %bb.93:
	v_bfe_u32 v3, v2, 21, 1
	s_mov_b32 s14, 0x88fffff
	v_add3_u32 v3, v2, v3, s14
	s_mov_b64 s[10:11], exec
	v_lshrrev_b32_e32 v3, 21, v3
	s_or_saveexec_b64 s[12:13], s[12:13]
                                        ; implicit-def: $sgpr14
	s_xor_b64 exec, exec, s[12:13]
	s_cbranch_execnz .LBB21_338
.LBB21_94:
	s_or_b64 exec, exec, s[12:13]
	v_mov_b32_e32 v5, s14
	s_and_saveexec_b64 s[12:13], s[10:11]
.LBB21_95:
	v_lshrrev_b32_e32 v5, 24, v2
	s_movk_i32 s10, 0x80
	v_and_or_b32 v5, v5, s10, v3
.LBB21_96:
	s_or_b64 exec, exec, s[12:13]
.LBB21_97:
	s_or_b64 exec, exec, s[8:9]
	s_mov_b64 s[8:9], 0
	global_store_byte v[0:1], v5, off
.LBB21_98:
	s_and_b64 vcc, exec, s[8:9]
	s_cbranch_vccz .LBB21_108
; %bb.99:
	v_and_b32_e32 v5, 0x7fffffff, v2
	s_mov_b32 s8, 0x43f00000
	v_cmp_gt_u32_e32 vcc, s8, v5
                                        ; implicit-def: $vgpr3
	s_and_saveexec_b64 s[8:9], vcc
	s_xor_b64 s[8:9], exec, s[8:9]
	s_cbranch_execz .LBB21_105
; %bb.100:
	s_mov_b32 s10, 0x3c7fffff
	v_cmp_lt_u32_e32 vcc, s10, v5
                                        ; implicit-def: $vgpr3
	s_and_saveexec_b64 s[10:11], vcc
	s_xor_b64 s[10:11], exec, s[10:11]
; %bb.101:
	v_bfe_u32 v3, v2, 20, 1
	s_mov_b32 s12, 0x407ffff
	v_add3_u32 v3, v2, v3, s12
	v_lshrrev_b32_e32 v5, 20, v3
	v_and_b32_e32 v3, 0xff00000, v3
	s_mov_b32 s12, 0x7f00000
	v_mov_b32_e32 v7, 0x7e
	v_cmp_ne_u32_e32 vcc, s12, v3
	v_cndmask_b32_e32 v3, v7, v5, vcc
; %bb.102:
	s_andn2_saveexec_b64 s[10:11], s[10:11]
; %bb.103:
	s_mov_b32 s12, 0x46800000
	v_add_f32_e64 v3, |v2|, s12
; %bb.104:
	s_or_b64 exec, exec, s[10:11]
                                        ; implicit-def: $vgpr5
.LBB21_105:
	s_andn2_saveexec_b64 s[8:9], s[8:9]
; %bb.106:
	s_mov_b32 s10, 0x7f800000
	v_mov_b32_e32 v3, 0x7e
	v_mov_b32_e32 v7, 0x7f
	v_cmp_lt_u32_e32 vcc, s10, v5
	v_cndmask_b32_e32 v3, v3, v7, vcc
; %bb.107:
	s_or_b64 exec, exec, s[8:9]
	v_lshrrev_b32_e32 v5, 24, v2
	s_movk_i32 s8, 0x80
	v_and_or_b32 v3, v5, s8, v3
	global_store_byte v[0:1], v3, off
.LBB21_108:
	s_mov_b64 s[8:9], 0
.LBB21_109:
	s_andn2_b64 vcc, exec, s[8:9]
	s_cbranch_vccnz .LBB21_119
; %bb.110:
	v_and_b32_e32 v5, 0x7fffffff, v2
	s_mov_b32 s8, 0x47800000
	v_cmp_gt_u32_e32 vcc, s8, v5
                                        ; implicit-def: $vgpr3
	s_and_saveexec_b64 s[8:9], vcc
	s_xor_b64 s[8:9], exec, s[8:9]
	s_cbranch_execz .LBB21_116
; %bb.111:
	s_mov_b32 s10, 0x387fffff
	v_cmp_lt_u32_e32 vcc, s10, v5
                                        ; implicit-def: $vgpr3
	s_and_saveexec_b64 s[10:11], vcc
	s_xor_b64 s[10:11], exec, s[10:11]
; %bb.112:
	v_bfe_u32 v3, v2, 21, 1
	s_mov_b32 s12, 0x80fffff
	v_add3_u32 v3, v2, v3, s12
	v_lshrrev_b32_e32 v3, 21, v3
; %bb.113:
	s_andn2_saveexec_b64 s[10:11], s[10:11]
; %bb.114:
	s_mov_b32 s12, 0x43000000
	v_add_f32_e64 v3, |v2|, s12
; %bb.115:
	s_or_b64 exec, exec, s[10:11]
                                        ; implicit-def: $vgpr5
.LBB21_116:
	s_andn2_saveexec_b64 s[8:9], s[8:9]
; %bb.117:
	s_mov_b32 s10, 0x7f800000
	v_mov_b32_e32 v3, 0x7c
	v_mov_b32_e32 v7, 0x7f
	v_cmp_lt_u32_e32 vcc, s10, v5
	v_cndmask_b32_e32 v3, v3, v7, vcc
; %bb.118:
	s_or_b64 exec, exec, s[8:9]
	v_lshrrev_b32_e32 v5, 24, v2
	s_movk_i32 s8, 0x80
	v_and_or_b32 v3, v5, s8, v3
	global_store_byte v[0:1], v3, off
.LBB21_119:
	s_mov_b64 s[10:11], 0
	s_mov_b64 s[8:9], -1
.LBB21_120:
	s_andn2_b64 vcc, exec, s[10:11]
	s_cbranch_vccnz .LBB21_128
; %bb.121:
	v_mov_b32_e32 v3, 14
	v_cmp_gt_i16_sdwa s[12:13], v6, v3 src0_sel:BYTE_0 src1_sel:DWORD
	s_mov_b64 s[10:11], -1
	s_and_b64 vcc, exec, s[12:13]
	s_cbranch_vccz .LBB21_125
; %bb.122:
	v_mov_b32_e32 v3, 15
	v_cmp_eq_u16_sdwa s[10:11], v6, v3 src0_sel:BYTE_0 src1_sel:DWORD
	s_mov_b64 s[0:1], -1
	s_and_b64 vcc, exec, s[10:11]
	s_cbranch_vccz .LBB21_124
; %bb.123:
	v_bfe_u32 v3, v2, 16, 1
	s_movk_i32 s0, 0x7fff
	v_add3_u32 v3, v2, v3, s0
	v_lshrrev_b32_e32 v3, 16, v3
	v_mov_b32_e32 v5, 0x7fc0
	v_cmp_o_f32_e32 vcc, v2, v2
	v_cndmask_b32_e32 v3, v5, v3, vcc
	global_store_short v[0:1], v3, off
	s_mov_b64 s[8:9], -1
	s_mov_b64 s[0:1], 0
.LBB21_124:
	s_mov_b64 s[10:11], 0
.LBB21_125:
	s_and_b64 vcc, exec, s[10:11]
	s_cbranch_vccz .LBB21_128
; %bb.126:
	v_mov_b32_e32 v3, 11
	v_cmp_eq_u16_sdwa s[10:11], v6, v3 src0_sel:BYTE_0 src1_sel:DWORD
	s_mov_b64 s[0:1], -1
	s_and_b64 vcc, exec, s[10:11]
	s_cbranch_vccz .LBB21_128
; %bb.127:
	v_cmp_neq_f32_e32 vcc, 0, v2
	v_cndmask_b32_e64 v3, 0, 1, vcc
	s_mov_b64 s[8:9], -1
	s_mov_b64 s[0:1], 0
	global_store_byte v[0:1], v3, off
.LBB21_128:
	s_branch .LBB21_47
.LBB21_129:
	v_mov_b32_e32 v3, 5
	v_cmp_lt_i16_sdwa s[10:11], v6, v3 src0_sel:BYTE_0 src1_sel:DWORD
	s_mov_b64 s[8:9], -1
	s_and_b64 vcc, exec, s[10:11]
	s_cbranch_vccnz .LBB21_150
; %bb.130:
	v_mov_b32_e32 v3, 8
	v_cmp_lt_i16_sdwa s[10:11], v6, v3 src0_sel:BYTE_0 src1_sel:DWORD
	s_and_b64 vcc, exec, s[10:11]
	s_cbranch_vccnz .LBB21_140
; %bb.131:
	v_mov_b32_e32 v3, 9
	v_cmp_lt_i16_sdwa s[10:11], v6, v3 src0_sel:BYTE_0 src1_sel:DWORD
	s_and_b64 vcc, exec, s[10:11]
	s_cbranch_vccnz .LBB21_137
; %bb.132:
	v_cmp_gt_i16_sdwa s[10:11], v6, v3 src0_sel:BYTE_0 src1_sel:DWORD
	s_and_b64 vcc, exec, s[10:11]
	s_cbranch_vccz .LBB21_134
; %bb.133:
	v_mov_b32_e32 v10, 0
	v_cvt_f64_f32_e32 v[8:9], v2
	v_mov_b32_e32 v11, v10
	global_store_dwordx4 v[0:1], v[8:11], off
	s_mov_b64 s[8:9], 0
.LBB21_134:
	s_andn2_b64 vcc, exec, s[8:9]
	s_cbranch_vccnz .LBB21_136
; %bb.135:
	v_mov_b32_e32 v3, 0
	global_store_dwordx2 v[0:1], v[2:3], off
.LBB21_136:
	s_mov_b64 s[8:9], 0
.LBB21_137:
	s_andn2_b64 vcc, exec, s[8:9]
	s_cbranch_vccnz .LBB21_139
; %bb.138:
	v_cvt_f16_f32_e32 v3, v2
	global_store_dword v[0:1], v3, off
.LBB21_139:
	s_mov_b64 s[8:9], 0
.LBB21_140:
	s_andn2_b64 vcc, exec, s[8:9]
	s_cbranch_vccnz .LBB21_149
; %bb.141:
	v_mov_b32_e32 v3, 6
	v_cmp_lt_i16_sdwa s[10:11], v6, v3 src0_sel:BYTE_0 src1_sel:DWORD
	s_mov_b64 s[8:9], -1
	s_and_b64 vcc, exec, s[10:11]
	s_cbranch_vccnz .LBB21_147
; %bb.142:
	v_cmp_gt_i16_sdwa s[10:11], v6, v3 src0_sel:BYTE_0 src1_sel:DWORD
	s_and_b64 vcc, exec, s[10:11]
	s_cbranch_vccz .LBB21_144
; %bb.143:
	v_cvt_f64_f32_e32 v[8:9], v2
	global_store_dwordx2 v[0:1], v[8:9], off
	s_mov_b64 s[8:9], 0
.LBB21_144:
	s_andn2_b64 vcc, exec, s[8:9]
	s_cbranch_vccnz .LBB21_146
; %bb.145:
	global_store_dword v[0:1], v2, off
.LBB21_146:
	s_mov_b64 s[8:9], 0
.LBB21_147:
	s_andn2_b64 vcc, exec, s[8:9]
	s_cbranch_vccnz .LBB21_149
; %bb.148:
	v_cvt_f16_f32_e32 v3, v2
	global_store_short v[0:1], v3, off
.LBB21_149:
	s_mov_b64 s[8:9], 0
.LBB21_150:
	s_andn2_b64 vcc, exec, s[8:9]
	s_cbranch_vccnz .LBB21_166
; %bb.151:
	v_mov_b32_e32 v3, 2
	v_cmp_lt_i16_sdwa s[10:11], v6, v3 src0_sel:BYTE_0 src1_sel:DWORD
	s_mov_b64 s[8:9], -1
	s_and_b64 vcc, exec, s[10:11]
	s_cbranch_vccnz .LBB21_161
; %bb.152:
	v_mov_b32_e32 v3, 3
	v_cmp_lt_i16_sdwa s[10:11], v6, v3 src0_sel:BYTE_0 src1_sel:DWORD
	s_and_b64 vcc, exec, s[10:11]
	s_cbranch_vccnz .LBB21_158
; %bb.153:
	v_cmp_gt_i16_sdwa s[10:11], v6, v3 src0_sel:BYTE_0 src1_sel:DWORD
	s_and_b64 vcc, exec, s[10:11]
	s_cbranch_vccz .LBB21_155
; %bb.154:
	v_trunc_f32_e32 v3, v2
	s_mov_b32 s8, 0x2f800000
	v_mul_f32_e64 v5, |v3|, s8
	v_floor_f32_e32 v5, v5
	s_mov_b32 s8, 0xcf800000
	v_cvt_u32_f32_e32 v7, v5
	v_fma_f32 v5, v5, s8, |v3|
	v_cvt_u32_f32_e32 v5, v5
	v_ashrrev_i32_e32 v3, 31, v3
	v_xor_b32_e32 v7, v7, v3
	s_mov_b64 s[8:9], 0
	v_xor_b32_e32 v5, v5, v3
	v_sub_co_u32_e32 v8, vcc, v5, v3
	v_subb_co_u32_e32 v9, vcc, v7, v3, vcc
	global_store_dwordx2 v[0:1], v[8:9], off
.LBB21_155:
	s_andn2_b64 vcc, exec, s[8:9]
	s_cbranch_vccnz .LBB21_157
; %bb.156:
	v_cvt_i32_f32_e32 v3, v2
	global_store_dword v[0:1], v3, off
.LBB21_157:
	s_mov_b64 s[8:9], 0
.LBB21_158:
	s_andn2_b64 vcc, exec, s[8:9]
	s_cbranch_vccnz .LBB21_160
; %bb.159:
	v_cvt_i32_f32_e32 v3, v2
	global_store_short v[0:1], v3, off
.LBB21_160:
	s_mov_b64 s[8:9], 0
.LBB21_161:
	s_andn2_b64 vcc, exec, s[8:9]
	s_cbranch_vccnz .LBB21_166
; %bb.162:
	v_mov_b32_e32 v3, 0
	v_cmp_gt_i16_sdwa s[10:11], v6, v3 src0_sel:BYTE_0 src1_sel:DWORD
	s_mov_b64 s[8:9], -1
	s_and_b64 vcc, exec, s[10:11]
	s_cbranch_vccz .LBB21_164
; %bb.163:
	v_cvt_i32_f32_e32 v3, v2
	s_mov_b64 s[8:9], 0
	global_store_byte v[0:1], v3, off
.LBB21_164:
	s_andn2_b64 vcc, exec, s[8:9]
	s_cbranch_vccnz .LBB21_166
; %bb.165:
	v_trunc_f32_e32 v2, v2
	s_mov_b32 s8, 0x2f800000
	v_mul_f32_e64 v3, |v2|, s8
	v_floor_f32_e32 v3, v3
	s_mov_b32 s8, 0xcf800000
	v_fma_f32 v3, v3, s8, |v2|
	v_cvt_u32_f32_e32 v3, v3
	v_ashrrev_i32_e32 v2, 31, v2
	v_xor_b32_e32 v3, v3, v2
	v_sub_u32_e32 v2, v3, v2
	global_store_byte v[0:1], v2, off
.LBB21_166:
.LBB21_167:
	v_add_u32_e32 v13, 0x80, v13
	s_mov_b64 s[8:9], -1
	s_branch .LBB21_278
.LBB21_168:
	s_mov_b64 s[2:3], -1
                                        ; implicit-def: $vgpr1
.LBB21_169:
	s_mov_b64 s[8:9], 0
.LBB21_170:
	s_and_b64 vcc, exec, s[8:9]
	s_cbranch_vccz .LBB21_174
; %bb.171:
	v_cmp_eq_u16_e32 vcc, 29, v4
	s_cbranch_vccz .LBB21_173
; %bb.172:
	global_load_dwordx2 v[8:9], v[2:3], off
	s_mov_b64 s[0:1], -1
	s_mov_b64 s[2:3], 0
	s_mov_b64 s[8:9], 0
	s_waitcnt vmcnt(0)
	v_ffbh_u32_e32 v1, v9
	v_min_u32_e32 v1, 32, v1
	v_lshlrev_b64 v[8:9], v1, v[8:9]
	v_min_u32_e32 v5, 1, v8
	v_or_b32_e32 v5, v9, v5
	v_cvt_f32_u32_e32 v5, v5
	v_sub_u32_e32 v1, 32, v1
	v_ldexp_f32 v1, v5, v1
	s_branch .LBB21_175
.LBB21_173:
	s_mov_b64 s[2:3], -1
                                        ; implicit-def: $vgpr1
.LBB21_174:
	s_mov_b64 s[8:9], 0
.LBB21_175:
	s_and_b64 vcc, exec, s[8:9]
	s_cbranch_vccz .LBB21_193
; %bb.176:
	v_cmp_gt_i16_e32 vcc, 27, v4
	s_cbranch_vccnz .LBB21_179
; %bb.177:
	v_cmp_lt_i16_e32 vcc, 27, v4
	s_cbranch_vccz .LBB21_180
; %bb.178:
	global_load_dword v1, v[2:3], off
	s_mov_b64 s[0:1], 0
	s_waitcnt vmcnt(0)
	v_cvt_f32_u32_e32 v1, v1
	s_branch .LBB21_181
.LBB21_179:
	s_mov_b64 s[0:1], -1
                                        ; implicit-def: $vgpr1
	s_branch .LBB21_184
.LBB21_180:
	s_mov_b64 s[0:1], -1
                                        ; implicit-def: $vgpr1
.LBB21_181:
	s_andn2_b64 vcc, exec, s[0:1]
	s_cbranch_vccnz .LBB21_183
; %bb.182:
	global_load_ushort v1, v[2:3], off
	s_waitcnt vmcnt(0)
	v_cvt_f32_u32_e32 v1, v1
.LBB21_183:
	s_mov_b64 s[0:1], 0
.LBB21_184:
	s_andn2_b64 vcc, exec, s[0:1]
	s_cbranch_vccnz .LBB21_192
; %bb.185:
	global_load_ubyte v5, v[2:3], off
	s_movk_i32 s0, 0x7f
                                        ; implicit-def: $sgpr12
	s_waitcnt vmcnt(0)
	v_cmp_lt_i16_e32 vcc, s0, v5
	s_mov_b64 s[0:1], 0
	s_and_saveexec_b64 s[8:9], vcc
	s_xor_b64 s[8:9], exec, s[8:9]
	s_cbranch_execz .LBB21_205
; %bb.186:
	s_movk_i32 s0, 0x80
	v_cmp_eq_u16_e32 vcc, s0, v5
	s_mov_b64 s[0:1], -1
                                        ; implicit-def: $sgpr12
	s_and_saveexec_b64 s[10:11], vcc
; %bb.187:
	s_mov_b32 s12, 0x7f800001
	s_xor_b64 s[0:1], exec, -1
; %bb.188:
	s_or_b64 exec, exec, s[10:11]
	s_and_b64 s[0:1], s[0:1], exec
	s_or_saveexec_b64 s[8:9], s[8:9]
	v_mov_b32_e32 v1, s12
	s_xor_b64 exec, exec, s[8:9]
	s_cbranch_execnz .LBB21_206
.LBB21_189:
	s_or_b64 exec, exec, s[8:9]
	s_and_saveexec_b64 s[8:9], s[0:1]
	s_cbranch_execz .LBB21_191
.LBB21_190:
	v_lshlrev_b32_e32 v1, 24, v5
	v_and_b32_e32 v5, 0xffff, v5
	v_and_b32_e32 v7, 7, v5
	v_ffbh_u32_e32 v9, v7
	v_min_u32_e32 v9, 32, v9
	v_subrev_u32_e32 v10, 28, v9
	v_bfe_u32 v8, v5, 3, 4
	v_lshlrev_b32_e32 v5, v10, v5
	v_sub_u32_e32 v9, 29, v9
	v_and_b32_e32 v5, 7, v5
	v_cmp_eq_u32_e32 vcc, 0, v8
	v_cndmask_b32_e32 v8, v8, v9, vcc
	v_cndmask_b32_e32 v5, v7, v5, vcc
	v_mov_b32_e32 v7, 0x3b800000
	v_lshlrev_b32_e32 v5, 20, v5
	v_and_b32_e32 v1, 0x80000000, v1
	v_lshl_add_u32 v7, v8, 23, v7
	v_or3_b32 v1, v1, v7, v5
.LBB21_191:
	s_or_b64 exec, exec, s[8:9]
.LBB21_192:
	s_mov_b64 s[0:1], -1
.LBB21_193:
	s_branch .LBB21_228
.LBB21_194:
	v_cmp_lt_i16_e32 vcc, 22, v4
	s_cbranch_vccz .LBB21_204
; %bb.195:
	v_cmp_gt_i16_e32 vcc, 24, v4
	s_cbranch_vccnz .LBB21_207
; %bb.196:
	v_cmp_lt_i16_e32 vcc, 24, v4
	s_cbranch_vccz .LBB21_208
; %bb.197:
	global_load_ubyte v5, v[2:3], off
	s_movk_i32 s0, 0x7f
                                        ; implicit-def: $sgpr12
	s_waitcnt vmcnt(0)
	v_cmp_lt_i16_e32 vcc, s0, v5
	s_mov_b64 s[0:1], 0
	s_and_saveexec_b64 s[8:9], vcc
	s_xor_b64 s[8:9], exec, s[8:9]
	s_cbranch_execz .LBB21_220
; %bb.198:
	s_movk_i32 s0, 0x80
	v_cmp_eq_u16_e32 vcc, s0, v5
	s_mov_b64 s[0:1], -1
                                        ; implicit-def: $sgpr12
	s_and_saveexec_b64 s[10:11], vcc
; %bb.199:
	s_mov_b32 s12, 0x7f800001
	s_xor_b64 s[0:1], exec, -1
; %bb.200:
	s_or_b64 exec, exec, s[10:11]
	s_and_b64 s[0:1], s[0:1], exec
	s_or_saveexec_b64 s[8:9], s[8:9]
	v_mov_b32_e32 v1, s12
	s_xor_b64 exec, exec, s[8:9]
	s_cbranch_execnz .LBB21_221
.LBB21_201:
	s_or_b64 exec, exec, s[8:9]
	s_and_saveexec_b64 s[8:9], s[0:1]
	s_cbranch_execz .LBB21_203
.LBB21_202:
	v_lshlrev_b32_e32 v1, 24, v5
	v_and_b32_e32 v5, 0xffff, v5
	v_and_b32_e32 v7, 3, v5
	v_ffbh_u32_e32 v9, v7
	v_min_u32_e32 v9, 32, v9
	v_subrev_u32_e32 v10, 29, v9
	v_bfe_u32 v8, v5, 2, 5
	v_lshlrev_b32_e32 v5, v10, v5
	v_sub_u32_e32 v9, 30, v9
	v_and_b32_e32 v5, 3, v5
	v_cmp_eq_u32_e32 vcc, 0, v8
	v_cndmask_b32_e32 v8, v8, v9, vcc
	v_cndmask_b32_e32 v5, v7, v5, vcc
	v_mov_b32_e32 v7, 0x37800000
	v_lshlrev_b32_e32 v5, 21, v5
	v_and_b32_e32 v1, 0x80000000, v1
	v_lshl_add_u32 v7, v8, 23, v7
	v_or3_b32 v1, v1, v7, v5
.LBB21_203:
	s_or_b64 exec, exec, s[8:9]
	s_mov_b64 s[0:1], 0
	s_branch .LBB21_209
.LBB21_204:
	s_mov_b64 s[8:9], -1
                                        ; implicit-def: $vgpr1
	s_branch .LBB21_215
.LBB21_205:
	s_or_saveexec_b64 s[8:9], s[8:9]
	v_mov_b32_e32 v1, s12
	s_xor_b64 exec, exec, s[8:9]
	s_cbranch_execz .LBB21_189
.LBB21_206:
	v_cmp_ne_u16_e32 vcc, 0, v5
	s_andn2_b64 s[0:1], s[0:1], exec
	s_and_b64 s[10:11], vcc, exec
	v_mov_b32_e32 v1, 0
	s_or_b64 s[0:1], s[0:1], s[10:11]
	s_or_b64 exec, exec, s[8:9]
	s_and_saveexec_b64 s[8:9], s[0:1]
	s_cbranch_execnz .LBB21_190
	s_branch .LBB21_191
.LBB21_207:
	s_mov_b64 s[0:1], -1
                                        ; implicit-def: $vgpr1
	s_branch .LBB21_212
.LBB21_208:
	s_mov_b64 s[0:1], -1
                                        ; implicit-def: $vgpr1
.LBB21_209:
	s_and_b64 vcc, exec, s[0:1]
	s_cbranch_vccz .LBB21_211
; %bb.210:
	global_load_ubyte v1, v[2:3], off
	s_mov_b32 s0, 0x7f800000
	s_waitcnt vmcnt(0)
	v_lshlrev_b32_e32 v1, 24, v1
	v_and_b32_e32 v5, 0x7f000000, v1
	v_ffbh_u32_e32 v7, v5
	v_min_u32_e32 v7, 32, v7
	v_sub_u32_e64 v7, v7, 4 clamp
	v_lshlrev_b32_e32 v9, v7, v5
	v_lshlrev_b32_e32 v7, 23, v7
	v_lshrrev_b32_e32 v9, 4, v9
	v_add_u32_e32 v8, 0x1000000, v5
	v_sub_u32_e32 v7, v9, v7
	v_ashrrev_i32_e32 v8, 8, v8
	v_add_u32_e32 v7, 0x3c000000, v7
	v_and_or_b32 v7, v8, s0, v7
	v_cmp_ne_u32_e32 vcc, 0, v5
	v_cndmask_b32_e32 v5, 0, v7, vcc
	s_brev_b32 s0, 1
	v_and_or_b32 v1, v1, s0, v5
.LBB21_211:
	s_mov_b64 s[0:1], 0
.LBB21_212:
	s_andn2_b64 vcc, exec, s[0:1]
	s_cbranch_vccnz .LBB21_214
; %bb.213:
	global_load_ubyte v1, v[2:3], off
	s_movk_i32 s0, 0x7f00
	s_brev_b32 s1, 16
	s_waitcnt vmcnt(0)
	v_lshlrev_b16_e32 v5, 8, v1
	v_lshlrev_b32_e32 v1, 25, v1
	v_lshrrev_b32_e32 v7, 4, v1
	v_and_or_b32 v8, v5, s0, 0.5
	v_or_b32_e32 v7, 0x70000000, v7
	v_add_f32_e32 v8, -0.5, v8
	v_mul_f32_e32 v7, 0x7800000, v7
	v_cmp_gt_u32_e32 vcc, s1, v1
	v_bfe_i32 v5, v5, 0, 16
	v_cndmask_b32_e32 v1, v7, v8, vcc
	s_brev_b32 s0, 1
	v_and_or_b32 v1, v5, s0, v1
.LBB21_214:
	s_mov_b64 s[8:9], 0
	s_mov_b64 s[0:1], -1
.LBB21_215:
	s_andn2_b64 vcc, exec, s[8:9]
	s_cbranch_vccnz .LBB21_228
; %bb.216:
	v_cmp_lt_i16_e32 vcc, 14, v4
	s_cbranch_vccz .LBB21_219
; %bb.217:
	v_cmp_eq_u16_e32 vcc, 15, v4
	s_cbranch_vccz .LBB21_222
; %bb.218:
	global_load_ushort v1, v[2:3], off
	s_mov_b64 s[0:1], -1
	s_mov_b64 s[2:3], 0
	s_waitcnt vmcnt(0)
	v_lshlrev_b32_e32 v1, 16, v1
	s_branch .LBB21_223
.LBB21_219:
	s_mov_b64 s[8:9], -1
                                        ; implicit-def: $vgpr1
	s_branch .LBB21_224
.LBB21_220:
	s_or_saveexec_b64 s[8:9], s[8:9]
	v_mov_b32_e32 v1, s12
	s_xor_b64 exec, exec, s[8:9]
	s_cbranch_execz .LBB21_201
.LBB21_221:
	v_cmp_ne_u16_e32 vcc, 0, v5
	s_andn2_b64 s[0:1], s[0:1], exec
	s_and_b64 s[10:11], vcc, exec
	v_mov_b32_e32 v1, 0
	s_or_b64 s[0:1], s[0:1], s[10:11]
	s_or_b64 exec, exec, s[8:9]
	s_and_saveexec_b64 s[8:9], s[0:1]
	s_cbranch_execnz .LBB21_202
	s_branch .LBB21_203
.LBB21_222:
	s_mov_b64 s[2:3], -1
                                        ; implicit-def: $vgpr1
.LBB21_223:
	s_mov_b64 s[8:9], 0
.LBB21_224:
	s_and_b64 vcc, exec, s[8:9]
	s_cbranch_vccz .LBB21_228
; %bb.225:
	v_cmp_eq_u16_e32 vcc, 11, v4
	s_cbranch_vccz .LBB21_227
; %bb.226:
	global_load_ubyte v1, v[2:3], off
	s_mov_b64 s[0:1], -1
	s_mov_b64 s[2:3], 0
	s_waitcnt vmcnt(0)
	v_cmp_ne_u16_e32 vcc, 0, v1
	v_cndmask_b32_e64 v1, 0, 1.0, vcc
	s_branch .LBB21_228
.LBB21_227:
	s_mov_b64 s[2:3], -1
                                        ; implicit-def: $vgpr1
.LBB21_228:
	s_branch .LBB21_25
.LBB21_229:
	v_cmp_gt_i16_e32 vcc, 5, v4
	s_cbranch_vccnz .LBB21_234
; %bb.230:
	v_cmp_gt_i16_e32 vcc, 8, v4
	s_cbranch_vccnz .LBB21_235
; %bb.231:
	;; [unrolled: 3-line block ×3, first 2 shown]
	v_cmp_lt_i16_e32 vcc, 9, v4
	s_cbranch_vccz .LBB21_237
; %bb.233:
	global_load_dwordx2 v[8:9], v[2:3], off
	s_mov_b64 s[0:1], 0
	s_waitcnt vmcnt(0)
	v_cvt_f32_f64_e32 v1, v[8:9]
	s_branch .LBB21_238
.LBB21_234:
                                        ; implicit-def: $vgpr1
	s_branch .LBB21_256
.LBB21_235:
	s_mov_b64 s[0:1], -1
                                        ; implicit-def: $vgpr1
	s_branch .LBB21_244
.LBB21_236:
	s_mov_b64 s[0:1], -1
                                        ; implicit-def: $vgpr1
	s_branch .LBB21_241
.LBB21_237:
	s_mov_b64 s[0:1], -1
                                        ; implicit-def: $vgpr1
.LBB21_238:
	s_andn2_b64 vcc, exec, s[0:1]
	s_cbranch_vccnz .LBB21_240
; %bb.239:
	global_load_dword v1, v[2:3], off
.LBB21_240:
	s_mov_b64 s[0:1], 0
.LBB21_241:
	s_andn2_b64 vcc, exec, s[0:1]
	s_cbranch_vccnz .LBB21_243
; %bb.242:
	global_load_dword v1, v[2:3], off
	s_waitcnt vmcnt(0)
	v_cvt_f32_f16_e32 v1, v1
.LBB21_243:
	s_mov_b64 s[0:1], 0
.LBB21_244:
	s_andn2_b64 vcc, exec, s[0:1]
	s_cbranch_vccnz .LBB21_255
; %bb.245:
	v_cmp_gt_i16_e32 vcc, 6, v4
	s_cbranch_vccnz .LBB21_248
; %bb.246:
	v_cmp_lt_i16_e32 vcc, 6, v4
	s_cbranch_vccz .LBB21_249
; %bb.247:
	global_load_dwordx2 v[8:9], v[2:3], off
	s_mov_b64 s[0:1], 0
	s_waitcnt vmcnt(0)
	v_cvt_f32_f64_e32 v1, v[8:9]
	s_branch .LBB21_250
.LBB21_248:
	s_mov_b64 s[0:1], -1
                                        ; implicit-def: $vgpr1
	s_branch .LBB21_253
.LBB21_249:
	s_mov_b64 s[0:1], -1
                                        ; implicit-def: $vgpr1
.LBB21_250:
	s_andn2_b64 vcc, exec, s[0:1]
	s_cbranch_vccnz .LBB21_252
; %bb.251:
	global_load_dword v1, v[2:3], off
.LBB21_252:
	s_mov_b64 s[0:1], 0
.LBB21_253:
	s_andn2_b64 vcc, exec, s[0:1]
	s_cbranch_vccnz .LBB21_255
; %bb.254:
	global_load_ushort v1, v[2:3], off
	s_waitcnt vmcnt(0)
	v_cvt_f32_f16_e32 v1, v1
.LBB21_255:
	s_cbranch_execnz .LBB21_275
.LBB21_256:
	v_cmp_gt_i16_e32 vcc, 2, v4
	s_cbranch_vccnz .LBB21_260
; %bb.257:
	v_cmp_gt_i16_e32 vcc, 3, v4
	s_cbranch_vccnz .LBB21_261
; %bb.258:
	v_cmp_lt_i16_e32 vcc, 3, v4
	s_cbranch_vccz .LBB21_262
; %bb.259:
	global_load_dwordx2 v[8:9], v[2:3], off
	s_mov_b64 s[0:1], 0
	s_waitcnt vmcnt(0)
	v_xor_b32_e32 v5, v8, v9
	v_ffbh_i32_e32 v1, v9
	v_ashrrev_i32_e32 v5, 31, v5
	v_add_u32_e32 v1, -1, v1
	v_add_u32_e32 v5, 32, v5
	v_min_u32_e32 v1, v1, v5
	v_lshlrev_b64 v[8:9], v1, v[8:9]
	v_min_u32_e32 v5, 1, v8
	v_or_b32_e32 v5, v9, v5
	v_cvt_f32_i32_e32 v5, v5
	v_sub_u32_e32 v1, 32, v1
	v_ldexp_f32 v1, v5, v1
	s_branch .LBB21_263
.LBB21_260:
	s_mov_b64 s[0:1], -1
                                        ; implicit-def: $vgpr1
	s_branch .LBB21_269
.LBB21_261:
	s_mov_b64 s[0:1], -1
                                        ; implicit-def: $vgpr1
	s_branch .LBB21_266
.LBB21_262:
	s_mov_b64 s[0:1], -1
                                        ; implicit-def: $vgpr1
.LBB21_263:
	s_andn2_b64 vcc, exec, s[0:1]
	s_cbranch_vccnz .LBB21_265
; %bb.264:
	global_load_dword v1, v[2:3], off
	s_waitcnt vmcnt(0)
	v_cvt_f32_i32_e32 v1, v1
.LBB21_265:
	s_mov_b64 s[0:1], 0
.LBB21_266:
	s_andn2_b64 vcc, exec, s[0:1]
	s_cbranch_vccnz .LBB21_268
; %bb.267:
	global_load_sshort v1, v[2:3], off
	s_waitcnt vmcnt(0)
	v_cvt_f32_i32_e32 v1, v1
.LBB21_268:
	s_mov_b64 s[0:1], 0
.LBB21_269:
	s_andn2_b64 vcc, exec, s[0:1]
	s_cbranch_vccnz .LBB21_275
; %bb.270:
	v_cmp_lt_i16_e32 vcc, 0, v4
	s_cbranch_vccz .LBB21_272
; %bb.271:
	global_load_sbyte v1, v[2:3], off
	s_mov_b64 s[0:1], 0
	s_waitcnt vmcnt(0)
	v_cvt_f32_i32_e32 v1, v1
	s_branch .LBB21_273
.LBB21_272:
	s_mov_b64 s[0:1], -1
                                        ; implicit-def: $vgpr1
.LBB21_273:
	s_andn2_b64 vcc, exec, s[0:1]
	s_cbranch_vccnz .LBB21_275
; %bb.274:
	global_load_ubyte v1, v[2:3], off
	s_waitcnt vmcnt(0)
	v_cvt_f32_ubyte0_e32 v1, v1
.LBB21_275:
	s_branch .LBB21_26
.LBB21_276:
	s_mov_b64 s[0:1], 0
.LBB21_277:
	s_mov_b64 s[8:9], 0
                                        ; implicit-def: $vgpr13
.LBB21_278:
	s_and_b64 s[52:53], s[0:1], exec
	s_and_b64 s[54:55], s[2:3], exec
	s_orn2_b64 s[2:3], s[8:9], exec
.LBB21_279:
	s_or_b64 exec, exec, s[56:57]
	s_mov_b64 s[10:11], 0
	s_mov_b64 s[0:1], 0
                                        ; implicit-def: $vgpr2_vgpr3
                                        ; implicit-def: $vgpr0
                                        ; implicit-def: $vgpr1
	s_and_saveexec_b64 s[56:57], s[2:3]
	s_cbranch_execz .LBB21_287
; %bb.280:
	v_cmp_gt_i32_e32 vcc, s72, v13
	s_mov_b64 s[0:1], -1
	s_mov_b64 s[58:59], s[54:55]
	s_mov_b64 s[60:61], s[52:53]
	s_and_saveexec_b64 s[62:63], vcc
	s_cbranch_execz .LBB21_568
; %bb.281:
	s_andn2_b64 vcc, exec, s[40:41]
	s_cbranch_vccnz .LBB21_290
; %bb.282:
	s_mov_b32 s58, 0
	s_andn2_b64 vcc, exec, s[50:51]
	v_mov_b32_e32 v2, 0
	v_mov_b32_e32 v0, 0
	s_cbranch_vccnz .LBB21_296
; %bb.283:
	s_add_i32 s66, s73, 1
	s_cmp_eq_u32 s74, 2
	s_cbranch_scc1 .LBB21_291
; %bb.284:
	s_and_b32 s58, s66, 28
	s_mov_b32 s59, 0
	v_mov_b32_e32 v0, 0
	s_mov_b64 s[60:61], s[34:35]
	s_mov_b64 s[64:65], s[48:49]
	v_mov_b32_e32 v3, v13
	v_mov_b32_e32 v2, 0
.LBB21_285:                             ; =>This Inner Loop Header: Depth=1
	s_load_dwordx8 s[16:23], s[60:61], 0x4
	s_load_dwordx4 s[0:3], s[60:61], 0x24
	s_load_dwordx8 s[8:15], s[64:65], 0x0
	s_add_u32 s60, s60, 48
	s_addc_u32 s61, s61, 0
	s_waitcnt vmcnt(0) lgkmcnt(0)
	v_mul_hi_u32 v1, s17, v3
	v_add_u32_e32 v1, v3, v1
	v_lshrrev_b32_e32 v1, s18, v1
	v_mul_lo_u32 v5, v1, s16
	v_mul_hi_u32 v7, s20, v1
	v_sub_u32_e32 v3, v3, v5
	v_add_u32_e32 v5, v1, v7
	v_lshrrev_b32_e32 v5, s21, v5
	v_mul_lo_u32 v8, v5, s19
	v_mul_hi_u32 v9, s23, v5
	v_sub_u32_e32 v1, v1, v8
	v_add_u32_e32 v8, v5, v9
	v_mul_lo_u32 v7, v3, s9
	v_mul_lo_u32 v3, v3, s8
	;; [unrolled: 1-line block ×4, first 2 shown]
	v_lshrrev_b32_e32 v8, s0, v8
	v_add3_u32 v0, v3, v0, v1
	v_mul_hi_u32 v3, s2, v8
	v_add_u32_e32 v3, v8, v3
	v_lshrrev_b32_e32 v3, s3, v3
	s_add_i32 s59, s59, 4
	v_add3_u32 v1, v7, v2, v9
	v_mul_lo_u32 v2, v8, s22
	v_mul_lo_u32 v7, v3, s1
	s_add_u32 s64, s64, 32
	v_sub_u32_e32 v2, v5, v2
	v_sub_u32_e32 v7, v8, v7
	s_addc_u32 s65, s65, 0
	v_mul_lo_u32 v5, v2, s12
	v_mul_lo_u32 v2, v2, s13
	;; [unrolled: 1-line block ×4, first 2 shown]
	s_cmp_eq_u32 s58, s59
	v_add3_u32 v2, v2, v1, v7
	v_add3_u32 v0, v5, v0, v8
	s_cbranch_scc0 .LBB21_285
; %bb.286:
	v_mov_b32_e32 v1, v2
	s_branch .LBB21_292
.LBB21_287:
	s_or_b64 exec, exec, s[56:57]
	s_mov_b64 s[2:3], 0
	s_and_saveexec_b64 s[8:9], s[54:55]
	s_cbranch_execnz .LBB21_958
.LBB21_288:
	s_or_b64 exec, exec, s[8:9]
	s_and_saveexec_b64 s[8:9], s[60:61]
	s_xor_b64 s[8:9], exec, s[8:9]
	s_cbranch_execz .LBB21_959
.LBB21_289:
	global_load_ubyte v1, v[2:3], off
	s_or_b64 s[0:1], s[0:1], exec
	s_waitcnt vmcnt(0)
	v_cmp_ne_u16_e32 vcc, 0, v1
	v_cndmask_b32_e64 v1, 0, 1.0, vcc
	s_or_b64 exec, exec, s[8:9]
	s_and_saveexec_b64 s[8:9], s[10:11]
	s_cbranch_execz .LBB21_1005
	s_branch .LBB21_960
.LBB21_290:
                                        ; implicit-def: $vgpr2
                                        ; implicit-def: $vgpr0
	s_andn2_b64 vcc, exec, s[0:1]
	s_cbranch_vccz .LBB21_297
	s_branch .LBB21_299
.LBB21_291:
	s_mov_b32 s59, s58
	s_waitcnt vmcnt(0)
	v_pk_mov_b32 v[0:1], s[58:59], s[58:59] op_sel:[0,1]
                                        ; implicit-def: $vgpr2
	v_mov_b32_e32 v3, v13
.LBB21_292:
	s_and_b32 s8, s66, 3
	s_cmp_eq_u32 s8, 0
	s_cbranch_scc1 .LBB21_296
; %bb.293:
	s_lshl_b32 s0, s58, 3
	s_add_u32 s0, s0, s34
	s_addc_u32 s1, s35, 0
	s_add_u32 s0, s0, 0xc4
	s_addc_u32 s1, s1, 0
	s_mul_i32 s2, s58, 12
	s_add_u32 s2, s34, s2
	s_addc_u32 s3, s35, 0
.LBB21_294:                             ; =>This Inner Loop Header: Depth=1
	s_load_dwordx2 s[10:11], s[2:3], 0x4
	s_load_dword s9, s[2:3], 0xc
	s_load_dwordx2 s[12:13], s[0:1], 0x0
	v_mov_b32_e32 v2, v1
	s_add_u32 s2, s2, 12
	s_waitcnt lgkmcnt(0)
	v_mul_hi_u32 v1, s11, v3
	v_add_u32_e32 v1, v3, v1
	v_lshrrev_b32_e32 v1, s9, v1
	s_addc_u32 s3, s3, 0
	v_mul_lo_u32 v5, v1, s10
	s_add_u32 s0, s0, 8
	v_sub_u32_e32 v5, v3, v5
	v_mov_b32_e32 v3, v1
	s_addc_u32 s1, s1, 0
	s_add_i32 s8, s8, -1
	v_mad_u64_u32 v[8:9], s[10:11], v5, s13, v[2:3]
	v_mad_u64_u32 v[0:1], s[10:11], v5, s12, v[0:1]
	s_cmp_lg_u32 s8, 0
	v_mov_b32_e32 v1, v8
	s_cbranch_scc1 .LBB21_294
; %bb.295:
	v_mov_b32_e32 v2, v1
.LBB21_296:
	s_cbranch_execnz .LBB21_299
.LBB21_297:
	s_waitcnt lgkmcnt(0)
	v_mul_hi_u32 v0, s37, v13
	v_add_u32_e32 v0, v13, v0
	s_waitcnt vmcnt(0)
	v_lshrrev_b32_e32 v1, s38, v0
	v_mul_lo_u32 v0, v1, s36
	v_sub_u32_e32 v0, v13, v0
	v_mul_lo_u32 v2, v0, s29
	s_andn2_b64 vcc, exec, s[46:47]
	v_mul_lo_u32 v0, v0, s28
	s_cbranch_vccnz .LBB21_299
; %bb.298:
	v_mul_hi_u32 v3, s44, v1
	v_add_u32_e32 v3, v1, v3
	v_lshrrev_b32_e32 v3, s45, v3
	v_mul_lo_u32 v3, v3, s39
	v_sub_u32_e32 v3, v1, v3
	v_mad_u64_u32 v[0:1], s[0:1], v3, s30, v[0:1]
	v_mad_u64_u32 v[2:3], s[0:1], v3, s31, v[2:3]
.LBB21_299:
	s_waitcnt vmcnt(0) lgkmcnt(0)
	v_mov_b32_e32 v1, s27
	v_add_co_u32_e32 v2, vcc, s26, v2
	v_addc_co_u32_e32 v3, vcc, 0, v1, vcc
	v_cmp_gt_i16_e32 vcc, 11, v4
	s_cbranch_vccnz .LBB21_306
; %bb.300:
	v_cmp_lt_i16_e32 vcc, 25, v4
	s_cbranch_vccz .LBB21_327
; %bb.301:
	v_cmp_lt_i16_e32 vcc, 28, v4
	s_cbranch_vccz .LBB21_329
	;; [unrolled: 3-line block ×4, first 2 shown]
; %bb.304:
	v_cmp_eq_u16_e32 vcc, 46, v4
	s_mov_b64 s[8:9], 0
	s_cbranch_vccz .LBB21_339
; %bb.305:
	global_load_dword v1, v[2:3], off
	s_mov_b64 s[0:1], -1
	s_mov_b64 s[2:3], 0
	s_waitcnt vmcnt(0)
	v_lshlrev_b32_e32 v1, 16, v1
	s_branch .LBB21_340
.LBB21_306:
	s_mov_b64 s[0:1], 0
                                        ; implicit-def: $vgpr1
	s_mov_b64 s[2:3], s[54:55]
	s_cbranch_execnz .LBB21_517
.LBB21_307:
	s_andn2_b64 vcc, exec, s[0:1]
	s_cbranch_vccnz .LBB21_565
.LBB21_308:
	s_waitcnt vmcnt(0)
	v_cmp_neq_f32_e32 vcc, 0, v1
	v_mov_b32_e32 v2, 0x7f800000
	s_and_saveexec_b64 s[8:9], vcc
	s_cbranch_execz .LBB21_320
; %bb.309:
	v_cmp_ngt_f32_e32 vcc, 0, v1
	v_mov_b32_e32 v2, 0x7fc00000
	s_and_saveexec_b64 s[10:11], vcc
	s_cbranch_execz .LBB21_319
; %bb.310:
	v_cmp_ge_f32_e32 vcc, 2.0, v1
                                        ; implicit-def: $vgpr2
	s_and_saveexec_b64 s[0:1], vcc
	s_xor_b64 s[12:13], exec, s[0:1]
	s_cbranch_execz .LBB21_316
; %bb.311:
	s_mov_b32 s0, 0x41000000
	v_mul_f32_e32 v2, 0.5, v1
	v_cmp_ge_f32_e32 vcc, s0, v1
                                        ; implicit-def: $vgpr5
                                        ; implicit-def: $vgpr3
	s_and_saveexec_b64 s[0:1], vcc
	s_xor_b64 s[0:1], exec, s[0:1]
	s_cbranch_execz .LBB21_313
; %bb.312:
	v_add_f32_e32 v3, -2.0, v2
	v_mov_b32_e32 v5, 0x24199b15
	v_fmac_f32_e32 v5, 0xa2a2e5b9, v3
	v_mov_b32_e32 v7, 0x22a2e5b9
	v_fmac_f32_e32 v7, v3, v5
	v_add_f32_e32 v7, 0xa58c275c, v7
	v_fma_f32 v5, v3, v7, -v5
	v_add_f32_e32 v5, 0x26f736c5, v5
	v_fma_f32 v7, v3, v5, -v7
	;; [unrolled: 2-line block ×23, first 2 shown]
	v_mul_f32_e32 v8, 0x3fb8aa3b, v1
	v_add_f32_e32 v5, 0x3d49f456, v5
	s_mov_b32 s14, 0x3fb8aa3b
	v_rndne_f32_e32 v9, v8
	v_fma_f32 v7, v3, v5, -v7
	v_sub_f32_e32 v10, v8, v9
	v_fma_f32 v8, v1, s14, -v8
	v_add_f32_e32 v7, 0xbdc25b82, v7
	v_fmac_f32_e32 v8, 0x32a5705f, v1
	v_fma_f32 v5, v3, v7, -v5
	v_add_f32_e32 v8, v10, v8
	v_add_f32_e32 v5, 0x3e2fbd64, v5
	v_exp_f32_e32 v8, v8
	v_cvt_i32_f32_e32 v9, v9
	v_fma_f32 v7, v3, v5, -v7
	v_add_f32_e32 v7, 0xbe9bff5e, v7
	v_fma_f32 v3, v3, v7, -v5
	s_mov_b32 s14, 0xc2ce8ed0
	v_add_f32_e32 v7, 0x3f2d4275, v3
	v_ldexp_f32 v3, v8, v9
	v_cmp_ngt_f32_e32 vcc, s14, v1
	s_mov_b32 s14, 0x42b17218
	v_cndmask_b32_e32 v3, 0, v3, vcc
	v_mov_b32_e32 v8, 0x7f800000
	v_cmp_nlt_f32_e32 vcc, s14, v1
	v_sub_f32_e32 v5, v7, v5
	v_cndmask_b32_e32 v3, v8, v3, vcc
	v_mul_f32_e32 v5, 0.5, v5
	v_mul_f32_e32 v5, v3, v5
.LBB21_313:
	s_andn2_saveexec_b64 s[14:15], s[0:1]
	s_cbranch_execz .LBB21_315
; %bb.314:
	s_mov_b32 s16, 0x42000000
	v_div_scale_f32 v3, s[0:1], v1, v1, s16
	v_rcp_f32_e32 v5, v3
	v_div_scale_f32 v7, vcc, s16, v1, s16
	s_mov_b32 s0, 0x3fb8aa3b
	v_fma_f32 v8, -v3, v5, 1.0
	v_fmac_f32_e32 v5, v8, v5
	v_mul_f32_e32 v8, v7, v5
	v_fma_f32 v9, -v3, v8, v7
	v_fmac_f32_e32 v8, v9, v5
	v_fma_f32 v3, -v3, v8, v7
	v_div_fmas_f32 v3, v3, v5, v8
	v_div_fixup_f32 v3, v3, v1, s16
	v_add_f32_e32 v3, -2.0, v3
	v_mov_b32_e32 v5, 0xa2b236d3
	v_fmac_f32_e32 v5, 0xa3056dbb, v3
	v_mov_b32_e32 v7, 0x23056dbb
	v_fmac_f32_e32 v7, v3, v5
	v_add_f32_e32 v7, 0x244df0c1, v7
	v_fma_f32 v5, v3, v7, -v5
	v_add_f32_e32 v5, 0x241f9ee8, v5
	v_fma_f32 v7, v3, v5, -v7
	;; [unrolled: 2-line block ×18, first 2 shown]
	v_mul_f32_e32 v8, 0x3fb8aa3b, v1
	v_add_f32_e32 v7, 0x345c003f, v7
	v_rndne_f32_e32 v9, v8
	v_fma_f32 v5, v3, v7, -v5
	v_sub_f32_e32 v10, v8, v9
	v_fma_f32 v8, v1, s0, -v8
	v_add_f32_e32 v5, 0x3642095e, v5
	v_fmac_f32_e32 v8, 0x32a5705f, v1
	v_fma_f32 v7, v3, v5, -v7
	v_add_f32_e32 v8, v10, v8
	v_add_f32_e32 v7, 0x38907d1c, v7
	v_exp_f32_e32 v8, v8
	v_cvt_i32_f32_e32 v9, v9
	v_fma_f32 v5, v3, v7, -v5
	v_add_f32_e32 v5, 0x3b5ccc65, v5
	v_fma_f32 v3, v3, v5, -v7
	s_mov_b32 s0, 0xc2ce8ed0
	v_add_f32_e32 v5, 0x3f4df315, v3
	v_ldexp_f32 v3, v8, v9
	v_cmp_ngt_f32_e32 vcc, s0, v1
	s_mov_b32 s0, 0x42b17218
	v_cndmask_b32_e32 v3, 0, v3, vcc
	v_mov_b32_e32 v8, 0x7f800000
	v_cmp_nlt_f32_e32 vcc, s0, v1
	s_mov_b32 s0, 0xf800000
	v_cndmask_b32_e32 v3, v8, v3, vcc
	v_mul_f32_e32 v8, 0x4f800000, v1
	v_cmp_gt_f32_e32 vcc, s0, v1
	v_cndmask_b32_e32 v8, v1, v8, vcc
	v_sqrt_f32_e32 v9, v8
	v_sub_f32_e32 v5, v5, v7
	v_mul_f32_e32 v5, 0.5, v5
	v_mul_f32_e32 v5, v3, v5
	v_add_u32_e32 v7, -1, v9
	v_fma_f32 v10, -v7, v9, v8
	v_cmp_ge_f32_e64 s[0:1], 0, v10
	v_add_u32_e32 v10, 1, v9
	v_cndmask_b32_e64 v7, v9, v7, s[0:1]
	v_fma_f32 v9, -v10, v9, v8
	v_cmp_lt_f32_e64 s[0:1], 0, v9
	v_cndmask_b32_e64 v7, v7, v10, s[0:1]
	v_mul_f32_e32 v9, 0x37800000, v7
	v_cndmask_b32_e32 v7, v7, v9, vcc
	v_mov_b32_e32 v9, 0x260
	v_cmp_class_f32_e32 vcc, v8, v9
	v_cndmask_b32_e32 v7, v7, v8, vcc
	v_div_scale_f32 v8, s[0:1], v7, v7, v5
	v_rcp_f32_e32 v9, v8
	v_fma_f32 v10, -v8, v9, 1.0
	v_fmac_f32_e32 v9, v10, v9
	v_div_scale_f32 v10, vcc, v5, v7, v5
	v_mul_f32_e32 v11, v10, v9
	v_fma_f32 v12, -v8, v11, v10
	v_fmac_f32_e32 v11, v12, v9
	v_fma_f32 v8, -v8, v11, v10
	v_div_fmas_f32 v8, v8, v9, v11
	v_div_fixup_f32 v5, v8, v7, v5
.LBB21_315:
	s_or_b64 exec, exec, s[14:15]
	v_fma_f32 v1, v1, v1, -2.0
	v_mov_b32_e32 v7, 0x293fd856
	v_fmac_f32_e32 v7, 0x251e770f, v1
	v_mov_b32_e32 v8, 0xa51e770f
	v_fmac_f32_e32 v8, v1, v7
	v_add_f32_e32 v8, 0x2d3612e2, v8
	v_fma_f32 v7, v1, v8, -v7
	v_add_f32_e32 v7, 0x3102e09b, v7
	v_fma_f32 v8, v1, v7, -v8
	;; [unrolled: 2-line block ×6, first 2 shown]
	v_add_f32_e32 v8, 0x3eb046c4, v8
	s_mov_b32 s0, 0x800000
	v_fma_f32 v1, v1, v8, -v7
	v_mov_b32_e32 v8, 0x4f800000
	v_cmp_gt_f32_e32 vcc, s0, v2
	v_cndmask_b32_e32 v8, 1.0, v8, vcc
	v_mul_f32_e32 v2, v2, v8
	v_log_f32_e32 v2, v2
	v_add_f32_e32 v1, 0xbf090b37, v1
	v_sub_f32_e32 v1, v1, v7
	s_mov_b32 s0, 0x3f317217
	v_mul_f32_e32 v7, 0x3f317217, v2
	v_fma_f32 v8, v2, s0, -v7
	v_fmac_f32_e32 v8, 0x3377d1cf, v2
	s_mov_b32 s0, 0x7f800000
	v_add_f32_e32 v7, v7, v8
	v_cmp_lt_f32_e64 s[0:1], |v2|, s0
	v_cndmask_b32_e64 v2, v2, v7, s[0:1]
	v_mov_b32_e32 v7, 0x41b17218
	v_cndmask_b32_e32 v7, 0, v7, vcc
	v_sub_f32_e32 v2, v2, v7
	v_mul_f32_e32 v2, v2, v5
	v_fma_f32 v1, v1, 0.5, -v2
	v_mul_f32_e32 v2, v3, v1
                                        ; implicit-def: $vgpr1
.LBB21_316:
	s_andn2_saveexec_b64 s[12:13], s[12:13]
	s_cbranch_execz .LBB21_318
; %bb.317:
	s_mov_b32 s14, 0x41000000
	v_div_scale_f32 v2, s[0:1], v1, v1, s14
	v_rcp_f32_e32 v3, v2
	v_div_scale_f32 v5, vcc, s14, v1, s14
	s_mov_b32 s0, 0xf800000
	v_fma_f32 v7, -v2, v3, 1.0
	v_fmac_f32_e32 v3, v7, v3
	v_mul_f32_e32 v7, v5, v3
	v_fma_f32 v8, -v2, v7, v5
	v_fmac_f32_e32 v7, v8, v3
	v_fma_f32 v2, -v2, v7, v5
	v_div_fmas_f32 v2, v2, v3, v7
	v_div_fixup_f32 v2, v2, v1, s14
	v_add_f32_e32 v2, -2.0, v2
	v_mov_b32_e32 v3, 0xa397f665
	v_fmac_f32_e32 v3, 0x22c38d2e, v2
	v_mov_b32_e32 v5, 0xa2c38d2e
	v_fmac_f32_e32 v5, v2, v3
	v_add_f32_e32 v5, 0x24704972, v5
	v_fma_f32 v3, v2, v5, -v3
	v_add_f32_e32 v3, 0xa5417ca4, v3
	v_fma_f32 v5, v2, v3, -v5
	v_add_f32_e32 v5, 0x261edfcb, v5
	v_fma_f32 v3, v2, v5, -v3
	v_add_f32_e32 v3, 0xa7053487, v3
	v_fma_f32 v5, v2, v3, -v5
	v_add_f32_e32 v5, 0x27e46ce2, v5
	v_fma_f32 v3, v2, v5, -v3
	v_add_f32_e32 v3, 0xa8c8a2f6, v3
	v_fma_f32 v5, v2, v3, -v5
	v_add_f32_e32 v5, 0x29b4e276, v5
	v_fma_f32 v3, v2, v5, -v3
	v_add_f32_e32 v3, 0xaaa7c3b9, v3
	v_fma_f32 v5, v2, v3, -v5
	v_add_f32_e32 v5, 0x2ba07d19, v5
	v_fma_f32 v3, v2, v5, -v3
	v_add_f32_e32 v3, 0xac9ed7e2, v3
	v_fma_f32 v5, v2, v3, -v5
	v_add_f32_e32 v5, 0x2da34042, v5
	v_fma_f32 v3, v2, v5, -v3
	v_add_f32_e32 v3, 0xaeaefcaf, v3
	v_fma_f32 v5, v2, v3, -v5
	v_add_f32_e32 v5, 0x2fc4ab64, v5
	v_fma_f32 v3, v2, v5, -v3
	v_add_f32_e32 v3, 0xb0e94eb0, v3
	v_fma_f32 v5, v2, v3, -v5
	v_add_f32_e32 v5, 0x32134d00, v5
	v_fma_f32 v3, v2, v5, -v3
	v_add_f32_e32 v3, 0xb3482aa1, v3
	v_fma_f32 v5, v2, v3, -v5
	v_add_f32_e32 v5, 0x34948acc, v5
	v_fma_f32 v3, v2, v5, -v3
	v_add_f32_e32 v3, 0xb5f5daa4, v3
	v_fma_f32 v5, v2, v3, -v5
	v_add_f32_e32 v5, 0x376a09fe, v5
	v_fma_f32 v3, v2, v5, -v3
	v_add_f32_e32 v3, 0xb906bcbf, v3
	v_fma_f32 v5, v2, v3, -v5
	v_add_f32_e32 v5, 0x3acdc490, v5
	v_fma_f32 v3, v2, v5, -v3
	v_add_f32_e32 v3, 0xbd00cfb9, v3
	v_fma_f32 v2, v2, v3, -v5
	v_mul_f32_e32 v3, 0x4f800000, v1
	v_cmp_gt_f32_e32 vcc, s0, v1
	v_cndmask_b32_e32 v1, v1, v3, vcc
	v_sqrt_f32_e32 v3, v1
	v_add_f32_e32 v2, 0x401c2ded, v2
	v_sub_f32_e32 v2, v2, v5
	v_mul_f32_e32 v2, 0.5, v2
	v_add_u32_e32 v5, -1, v3
	v_fma_f32 v7, -v5, v3, v1
	v_cmp_ge_f32_e64 s[0:1], 0, v7
	v_add_u32_e32 v7, 1, v3
	v_cndmask_b32_e64 v5, v3, v5, s[0:1]
	v_fma_f32 v3, -v7, v3, v1
	v_cmp_lt_f32_e64 s[0:1], 0, v3
	v_cndmask_b32_e64 v3, v5, v7, s[0:1]
	v_mul_f32_e32 v5, 0x37800000, v3
	v_cndmask_b32_e32 v3, v3, v5, vcc
	v_mov_b32_e32 v5, 0x260
	v_cmp_class_f32_e32 vcc, v1, v5
	v_cndmask_b32_e32 v1, v3, v1, vcc
	v_div_scale_f32 v3, s[0:1], v1, v1, v2
	v_rcp_f32_e32 v5, v3
	v_fma_f32 v7, -v3, v5, 1.0
	v_fmac_f32_e32 v5, v7, v5
	v_div_scale_f32 v7, vcc, v2, v1, v2
	v_mul_f32_e32 v8, v7, v5
	v_fma_f32 v9, -v3, v8, v7
	v_fmac_f32_e32 v8, v9, v5
	v_fma_f32 v3, -v3, v8, v7
	v_div_fmas_f32 v3, v3, v5, v8
	v_div_fixup_f32 v2, v3, v1, v2
.LBB21_318:
	s_or_b64 exec, exec, s[12:13]
.LBB21_319:
	s_or_b64 exec, exec, s[10:11]
.LBB21_320:
	s_or_b64 exec, exec, s[8:9]
	v_mov_b32_e32 v1, s25
	v_add_co_u32_e32 v0, vcc, s24, v0
	v_mov_b32_e32 v3, 11
	v_addc_co_u32_e32 v1, vcc, 0, v1, vcc
	v_cmp_lt_i16_sdwa s[0:1], v6, v3 src0_sel:BYTE_0 src1_sel:DWORD
	s_and_b64 vcc, exec, s[0:1]
	s_cbranch_vccnz .LBB21_328
; %bb.321:
	v_mov_b32_e32 v3, 25
	v_cmp_gt_i16_sdwa s[0:1], v6, v3 src0_sel:BYTE_0 src1_sel:DWORD
	s_and_b64 vcc, exec, s[0:1]
	s_cbranch_vccz .LBB21_330
; %bb.322:
	v_mov_b32_e32 v3, 28
	v_cmp_gt_i16_sdwa s[0:1], v6, v3 src0_sel:BYTE_0 src1_sel:DWORD
	s_and_b64 vcc, exec, s[0:1]
	s_cbranch_vccz .LBB21_332
	;; [unrolled: 5-line block ×4, first 2 shown]
; %bb.325:
	v_mov_b32_e32 v3, 46
	v_cmp_eq_u16_sdwa s[8:9], v6, v3 src0_sel:BYTE_0 src1_sel:DWORD
	s_mov_b64 s[10:11], 0
	s_mov_b64 s[0:1], -1
	s_and_b64 vcc, exec, s[8:9]
	s_mov_b64 s[8:9], 0
	s_cbranch_vccz .LBB21_344
; %bb.326:
	v_bfe_u32 v3, v2, 16, 1
	s_movk_i32 s0, 0x7fff
	v_add3_u32 v3, v2, v3, s0
	v_lshrrev_b32_e32 v3, 16, v3
	v_mov_b32_e32 v5, 0x7fc0
	v_cmp_o_f32_e32 vcc, v2, v2
	v_cndmask_b32_e32 v3, v5, v3, vcc
	global_store_dword v[0:1], v3, off
	s_mov_b64 s[8:9], -1
	s_mov_b64 s[0:1], 0
	s_branch .LBB21_344
.LBB21_327:
	s_mov_b64 s[8:9], -1
	s_mov_b64 s[0:1], 0
	s_mov_b64 s[2:3], s[54:55]
                                        ; implicit-def: $vgpr1
	s_branch .LBB21_481
.LBB21_328:
	s_mov_b64 s[10:11], -1
	s_mov_b64 s[8:9], 0
	s_mov_b64 s[0:1], s[52:53]
	s_branch .LBB21_413
.LBB21_329:
	s_mov_b64 s[8:9], -1
	s_mov_b64 s[0:1], 0
	s_mov_b64 s[2:3], s[54:55]
                                        ; implicit-def: $vgpr1
	s_branch .LBB21_462
.LBB21_330:
	s_mov_b64 s[10:11], -1
	s_mov_b64 s[8:9], 0
	s_mov_b64 s[0:1], s[52:53]
	s_branch .LBB21_371
.LBB21_331:
	s_mov_b64 s[8:9], -1
	s_mov_b64 s[0:1], 0
	s_mov_b64 s[2:3], s[54:55]
                                        ; implicit-def: $vgpr1
	s_branch .LBB21_457
.LBB21_332:
	s_mov_b64 s[10:11], -1
	s_mov_b64 s[8:9], 0
	s_mov_b64 s[0:1], s[52:53]
	s_branch .LBB21_354
.LBB21_333:
	s_or_saveexec_b64 s[12:13], s[12:13]
                                        ; implicit-def: $sgpr14
	s_xor_b64 exec, exec, s[12:13]
	s_cbranch_execz .LBB21_81
.LBB21_334:
	s_mov_b32 s14, 0x46000000
	v_add_f32_e64 v3, |v2|, s14
	v_and_b32_e32 v3, 0xff, v3
	v_cmp_ne_u32_e32 vcc, 0, v3
	s_andn2_b64 s[10:11], s[10:11], exec
	s_and_b64 s[16:17], vcc, exec
	s_mov_b32 s14, 0
	s_or_b64 s[10:11], s[10:11], s[16:17]
	s_or_b64 exec, exec, s[12:13]
	v_mov_b32_e32 v5, s14
	s_and_saveexec_b64 s[12:13], s[10:11]
	s_cbranch_execnz .LBB21_82
	s_branch .LBB21_83
.LBB21_335:
	s_mov_b64 s[8:9], -1
	s_mov_b64 s[0:1], 0
	s_mov_b64 s[2:3], s[54:55]
                                        ; implicit-def: $vgpr1
	s_branch .LBB21_340
.LBB21_336:
	s_mov_b64 s[10:11], -1
	s_mov_b64 s[8:9], 0
	s_mov_b64 s[0:1], s[52:53]
	s_branch .LBB21_350
.LBB21_337:
	s_or_saveexec_b64 s[12:13], s[12:13]
                                        ; implicit-def: $sgpr14
	s_xor_b64 exec, exec, s[12:13]
	s_cbranch_execz .LBB21_94
.LBB21_338:
	s_mov_b32 s14, 0x42800000
	v_add_f32_e64 v3, |v2|, s14
	v_and_b32_e32 v3, 0xff, v3
	v_cmp_ne_u32_e32 vcc, 0, v3
	s_andn2_b64 s[10:11], s[10:11], exec
	s_and_b64 s[16:17], vcc, exec
	s_mov_b32 s14, 0
	s_or_b64 s[10:11], s[10:11], s[16:17]
	s_or_b64 exec, exec, s[12:13]
	v_mov_b32_e32 v5, s14
	s_and_saveexec_b64 s[12:13], s[10:11]
	s_cbranch_execnz .LBB21_95
	s_branch .LBB21_96
.LBB21_339:
	s_mov_b64 s[2:3], -1
                                        ; implicit-def: $vgpr1
	s_mov_b64 s[0:1], 0
.LBB21_340:
	s_and_b64 vcc, exec, s[8:9]
	s_cbranch_vccz .LBB21_456
; %bb.341:
	v_cmp_eq_u16_e32 vcc, 44, v4
	s_cbranch_vccz .LBB21_455
; %bb.342:
	global_load_ubyte v1, v[2:3], off
	s_movk_i32 s2, 0xff
	v_mov_b32_e32 v5, 0x7f800001
	v_mov_b32_e32 v7, 0x400000
	s_mov_b64 s[0:1], -1
	s_waitcnt vmcnt(0)
	v_lshlrev_b32_e32 v8, 23, v1
	v_cmp_ne_u32_e32 vcc, s2, v1
	v_cndmask_b32_e32 v5, v5, v8, vcc
	v_cmp_ne_u32_e32 vcc, 0, v1
	v_cndmask_b32_e32 v1, v7, v5, vcc
	s_mov_b64 s[2:3], 0
	s_branch .LBB21_456
.LBB21_343:
	s_mov_b64 s[10:11], -1
	s_mov_b64 s[8:9], 0
	s_mov_b64 s[0:1], s[52:53]
.LBB21_344:
	s_and_b64 vcc, exec, s[10:11]
	s_cbranch_vccz .LBB21_349
; %bb.345:
	v_mov_b32_e32 v3, 44
	v_cmp_eq_u16_sdwa s[10:11], v6, v3 src0_sel:BYTE_0 src1_sel:DWORD
	s_mov_b64 s[0:1], -1
	s_and_b64 vcc, exec, s[10:11]
	s_cbranch_vccz .LBB21_349
; %bb.346:
	v_bfe_u32 v3, v2, 23, 8
	s_movk_i32 s0, 0xff
	v_cmp_ne_u32_e32 vcc, s0, v3
	v_mov_b32_e32 v5, 0xff
	s_and_saveexec_b64 s[8:9], vcc
; %bb.347:
	s_mov_b32 s0, 0x3fffff
	v_and_b32_e32 v7, 0x400000, v2
	v_and_or_b32 v3, v2, s0, v3
	v_cmp_ne_u32_e32 vcc, 0, v7
	v_cmp_ne_u32_e64 s[0:1], 0, v3
	s_and_b64 s[0:1], vcc, s[0:1]
	v_lshrrev_b32_e32 v5, 23, v2
	v_cndmask_b32_e64 v3, 0, 1, s[0:1]
	v_add_u32_e32 v5, v5, v3
; %bb.348:
	s_or_b64 exec, exec, s[8:9]
	s_mov_b64 s[8:9], -1
	s_mov_b64 s[0:1], 0
	global_store_byte v[0:1], v5, off
.LBB21_349:
	s_mov_b64 s[10:11], 0
.LBB21_350:
	s_and_b64 vcc, exec, s[10:11]
	s_cbranch_vccz .LBB21_353
; %bb.351:
	v_mov_b32_e32 v3, 29
	v_cmp_eq_u16_sdwa s[10:11], v6, v3 src0_sel:BYTE_0 src1_sel:DWORD
	s_mov_b64 s[0:1], -1
	s_and_b64 vcc, exec, s[10:11]
	s_cbranch_vccz .LBB21_353
; %bb.352:
	v_trunc_f32_e32 v3, v2
	v_mul_f32_e32 v5, 0x2f800000, v3
	v_floor_f32_e32 v5, v5
	v_fmac_f32_e32 v3, 0xcf800000, v5
	v_cvt_u32_f32_e32 v9, v5
	v_cvt_u32_f32_e32 v8, v3
	s_mov_b64 s[8:9], -1
	s_mov_b64 s[0:1], 0
	s_mov_b64 s[10:11], 0
	global_store_dwordx2 v[0:1], v[8:9], off
	s_branch .LBB21_354
.LBB21_353:
	s_mov_b64 s[10:11], 0
.LBB21_354:
	s_and_b64 vcc, exec, s[10:11]
	s_cbranch_vccz .LBB21_370
; %bb.355:
	v_mov_b32_e32 v3, 27
	v_cmp_lt_i16_sdwa s[10:11], v6, v3 src0_sel:BYTE_0 src1_sel:DWORD
	s_mov_b64 s[8:9], -1
	s_and_b64 vcc, exec, s[10:11]
	s_cbranch_vccnz .LBB21_361
; %bb.356:
	v_cmp_gt_i16_sdwa s[10:11], v6, v3 src0_sel:BYTE_0 src1_sel:DWORD
	v_cvt_u32_f32_e32 v3, v2
	s_and_b64 vcc, exec, s[10:11]
	s_cbranch_vccz .LBB21_358
; %bb.357:
	s_mov_b64 s[8:9], 0
	global_store_dword v[0:1], v3, off
.LBB21_358:
	s_andn2_b64 vcc, exec, s[8:9]
	s_cbranch_vccnz .LBB21_360
; %bb.359:
	global_store_short v[0:1], v3, off
.LBB21_360:
	s_mov_b64 s[8:9], 0
.LBB21_361:
	s_andn2_b64 vcc, exec, s[8:9]
	s_cbranch_vccnz .LBB21_369
; %bb.362:
	v_and_b32_e32 v3, 0x7fffffff, v2
	s_mov_b32 s8, 0x43800000
	v_cmp_gt_u32_e32 vcc, s8, v3
	v_mov_b32_e32 v5, 0x80
	s_and_saveexec_b64 s[8:9], vcc
	s_cbranch_execz .LBB21_368
; %bb.363:
	s_mov_b32 s10, 0x3bffffff
	v_cmp_lt_u32_e32 vcc, s10, v3
	s_mov_b64 s[10:11], 0
                                        ; implicit-def: $vgpr3
	s_and_saveexec_b64 s[12:13], vcc
	s_xor_b64 s[12:13], exec, s[12:13]
	s_cbranch_execz .LBB21_597
; %bb.364:
	v_bfe_u32 v3, v2, 20, 1
	s_mov_b32 s14, 0x487ffff
	v_add3_u32 v3, v2, v3, s14
	s_mov_b64 s[10:11], exec
	v_lshrrev_b32_e32 v3, 20, v3
	s_or_saveexec_b64 s[12:13], s[12:13]
                                        ; implicit-def: $sgpr14
	s_xor_b64 exec, exec, s[12:13]
	s_cbranch_execnz .LBB21_598
.LBB21_365:
	s_or_b64 exec, exec, s[12:13]
	v_mov_b32_e32 v5, s14
	s_and_saveexec_b64 s[12:13], s[10:11]
.LBB21_366:
	v_lshrrev_b32_e32 v5, 24, v2
	s_movk_i32 s10, 0x80
	v_and_or_b32 v5, v5, s10, v3
.LBB21_367:
	s_or_b64 exec, exec, s[12:13]
.LBB21_368:
	s_or_b64 exec, exec, s[8:9]
	global_store_byte v[0:1], v5, off
.LBB21_369:
	s_mov_b64 s[8:9], -1
.LBB21_370:
	s_mov_b64 s[10:11], 0
.LBB21_371:
	s_and_b64 vcc, exec, s[10:11]
	s_cbranch_vccz .LBB21_412
; %bb.372:
	v_mov_b32_e32 v3, 22
	v_cmp_gt_i16_sdwa s[12:13], v6, v3 src0_sel:BYTE_0 src1_sel:DWORD
	s_mov_b64 s[10:11], -1
	s_and_b64 vcc, exec, s[12:13]
	s_cbranch_vccz .LBB21_404
; %bb.373:
	v_mov_b32_e32 v3, 24
	v_cmp_lt_i16_sdwa s[10:11], v6, v3 src0_sel:BYTE_0 src1_sel:DWORD
	s_mov_b64 s[8:9], -1
	s_and_b64 vcc, exec, s[10:11]
	s_cbranch_vccnz .LBB21_393
; %bb.374:
	v_cmp_gt_i16_sdwa s[10:11], v6, v3 src0_sel:BYTE_0 src1_sel:DWORD
	s_and_b64 vcc, exec, s[10:11]
	s_cbranch_vccz .LBB21_382
; %bb.375:
	v_and_b32_e32 v3, 0x7fffffff, v2
	s_mov_b32 s8, 0x47800000
	v_cmp_gt_u32_e32 vcc, s8, v3
	v_mov_b32_e32 v5, 0x80
	s_and_saveexec_b64 s[8:9], vcc
	s_cbranch_execz .LBB21_381
; %bb.376:
	s_mov_b32 s10, 0x37ffffff
	v_cmp_lt_u32_e32 vcc, s10, v3
	s_mov_b64 s[10:11], 0
                                        ; implicit-def: $vgpr3
	s_and_saveexec_b64 s[12:13], vcc
	s_xor_b64 s[12:13], exec, s[12:13]
	s_cbranch_execz .LBB21_600
; %bb.377:
	v_bfe_u32 v3, v2, 21, 1
	s_mov_b32 s14, 0x88fffff
	v_add3_u32 v3, v2, v3, s14
	s_mov_b64 s[10:11], exec
	v_lshrrev_b32_e32 v3, 21, v3
	s_or_saveexec_b64 s[12:13], s[12:13]
                                        ; implicit-def: $sgpr14
	s_xor_b64 exec, exec, s[12:13]
	s_cbranch_execnz .LBB21_601
.LBB21_378:
	s_or_b64 exec, exec, s[12:13]
	v_mov_b32_e32 v5, s14
	s_and_saveexec_b64 s[12:13], s[10:11]
.LBB21_379:
	v_lshrrev_b32_e32 v5, 24, v2
	s_movk_i32 s10, 0x80
	v_and_or_b32 v5, v5, s10, v3
.LBB21_380:
	s_or_b64 exec, exec, s[12:13]
.LBB21_381:
	s_or_b64 exec, exec, s[8:9]
	s_mov_b64 s[8:9], 0
	global_store_byte v[0:1], v5, off
.LBB21_382:
	s_and_b64 vcc, exec, s[8:9]
	s_cbranch_vccz .LBB21_392
; %bb.383:
	v_and_b32_e32 v5, 0x7fffffff, v2
	s_mov_b32 s8, 0x43f00000
	v_cmp_gt_u32_e32 vcc, s8, v5
                                        ; implicit-def: $vgpr3
	s_and_saveexec_b64 s[8:9], vcc
	s_xor_b64 s[8:9], exec, s[8:9]
	s_cbranch_execz .LBB21_389
; %bb.384:
	s_mov_b32 s10, 0x3c7fffff
	v_cmp_lt_u32_e32 vcc, s10, v5
                                        ; implicit-def: $vgpr3
	s_and_saveexec_b64 s[10:11], vcc
	s_xor_b64 s[10:11], exec, s[10:11]
; %bb.385:
	v_bfe_u32 v3, v2, 20, 1
	s_mov_b32 s12, 0x407ffff
	v_add3_u32 v3, v2, v3, s12
	v_lshrrev_b32_e32 v5, 20, v3
	v_and_b32_e32 v3, 0xff00000, v3
	s_mov_b32 s12, 0x7f00000
	v_mov_b32_e32 v7, 0x7e
	v_cmp_ne_u32_e32 vcc, s12, v3
	v_cndmask_b32_e32 v3, v7, v5, vcc
; %bb.386:
	s_andn2_saveexec_b64 s[10:11], s[10:11]
; %bb.387:
	s_mov_b32 s12, 0x46800000
	v_add_f32_e64 v3, |v2|, s12
; %bb.388:
	s_or_b64 exec, exec, s[10:11]
                                        ; implicit-def: $vgpr5
.LBB21_389:
	s_andn2_saveexec_b64 s[8:9], s[8:9]
; %bb.390:
	s_mov_b32 s10, 0x7f800000
	v_mov_b32_e32 v3, 0x7e
	v_mov_b32_e32 v7, 0x7f
	v_cmp_lt_u32_e32 vcc, s10, v5
	v_cndmask_b32_e32 v3, v3, v7, vcc
; %bb.391:
	s_or_b64 exec, exec, s[8:9]
	v_lshrrev_b32_e32 v5, 24, v2
	s_movk_i32 s8, 0x80
	v_and_or_b32 v3, v5, s8, v3
	global_store_byte v[0:1], v3, off
.LBB21_392:
	s_mov_b64 s[8:9], 0
.LBB21_393:
	s_andn2_b64 vcc, exec, s[8:9]
	s_cbranch_vccnz .LBB21_403
; %bb.394:
	v_and_b32_e32 v5, 0x7fffffff, v2
	s_mov_b32 s8, 0x47800000
	v_cmp_gt_u32_e32 vcc, s8, v5
                                        ; implicit-def: $vgpr3
	s_and_saveexec_b64 s[8:9], vcc
	s_xor_b64 s[8:9], exec, s[8:9]
	s_cbranch_execz .LBB21_400
; %bb.395:
	s_mov_b32 s10, 0x387fffff
	v_cmp_lt_u32_e32 vcc, s10, v5
                                        ; implicit-def: $vgpr3
	s_and_saveexec_b64 s[10:11], vcc
	s_xor_b64 s[10:11], exec, s[10:11]
; %bb.396:
	v_bfe_u32 v3, v2, 21, 1
	s_mov_b32 s12, 0x80fffff
	v_add3_u32 v3, v2, v3, s12
	v_lshrrev_b32_e32 v3, 21, v3
; %bb.397:
	s_andn2_saveexec_b64 s[10:11], s[10:11]
; %bb.398:
	s_mov_b32 s12, 0x43000000
	v_add_f32_e64 v3, |v2|, s12
; %bb.399:
	s_or_b64 exec, exec, s[10:11]
                                        ; implicit-def: $vgpr5
.LBB21_400:
	s_andn2_saveexec_b64 s[8:9], s[8:9]
; %bb.401:
	s_mov_b32 s10, 0x7f800000
	v_mov_b32_e32 v3, 0x7c
	v_mov_b32_e32 v7, 0x7f
	v_cmp_lt_u32_e32 vcc, s10, v5
	v_cndmask_b32_e32 v3, v3, v7, vcc
; %bb.402:
	s_or_b64 exec, exec, s[8:9]
	v_lshrrev_b32_e32 v5, 24, v2
	s_movk_i32 s8, 0x80
	v_and_or_b32 v3, v5, s8, v3
	global_store_byte v[0:1], v3, off
.LBB21_403:
	s_mov_b64 s[10:11], 0
	s_mov_b64 s[8:9], -1
.LBB21_404:
	s_andn2_b64 vcc, exec, s[10:11]
	s_cbranch_vccnz .LBB21_412
; %bb.405:
	v_mov_b32_e32 v3, 14
	v_cmp_gt_i16_sdwa s[12:13], v6, v3 src0_sel:BYTE_0 src1_sel:DWORD
	s_mov_b64 s[10:11], -1
	s_and_b64 vcc, exec, s[12:13]
	s_cbranch_vccz .LBB21_409
; %bb.406:
	v_mov_b32_e32 v3, 15
	v_cmp_eq_u16_sdwa s[10:11], v6, v3 src0_sel:BYTE_0 src1_sel:DWORD
	s_mov_b64 s[0:1], -1
	s_and_b64 vcc, exec, s[10:11]
	s_cbranch_vccz .LBB21_408
; %bb.407:
	v_bfe_u32 v3, v2, 16, 1
	s_movk_i32 s0, 0x7fff
	v_add3_u32 v3, v2, v3, s0
	v_lshrrev_b32_e32 v3, 16, v3
	v_mov_b32_e32 v5, 0x7fc0
	v_cmp_o_f32_e32 vcc, v2, v2
	v_cndmask_b32_e32 v3, v5, v3, vcc
	global_store_short v[0:1], v3, off
	s_mov_b64 s[8:9], -1
	s_mov_b64 s[0:1], 0
.LBB21_408:
	s_mov_b64 s[10:11], 0
.LBB21_409:
	s_and_b64 vcc, exec, s[10:11]
	s_cbranch_vccz .LBB21_412
; %bb.410:
	v_mov_b32_e32 v3, 11
	v_cmp_eq_u16_sdwa s[10:11], v6, v3 src0_sel:BYTE_0 src1_sel:DWORD
	s_mov_b64 s[0:1], -1
	s_and_b64 vcc, exec, s[10:11]
	s_cbranch_vccz .LBB21_412
; %bb.411:
	v_cmp_neq_f32_e32 vcc, 0, v2
	v_cndmask_b32_e64 v3, 0, 1, vcc
	s_mov_b64 s[8:9], -1
	s_mov_b64 s[0:1], 0
	global_store_byte v[0:1], v3, off
.LBB21_412:
	s_mov_b64 s[10:11], 0
.LBB21_413:
	s_and_b64 vcc, exec, s[10:11]
	s_cbranch_vccz .LBB21_452
; %bb.414:
	v_mov_b32_e32 v3, 5
	v_cmp_lt_i16_sdwa s[10:11], v6, v3 src0_sel:BYTE_0 src1_sel:DWORD
	s_mov_b64 s[8:9], -1
	s_and_b64 vcc, exec, s[10:11]
	s_cbranch_vccnz .LBB21_435
; %bb.415:
	v_mov_b32_e32 v3, 8
	v_cmp_lt_i16_sdwa s[10:11], v6, v3 src0_sel:BYTE_0 src1_sel:DWORD
	s_and_b64 vcc, exec, s[10:11]
	s_cbranch_vccnz .LBB21_425
; %bb.416:
	v_mov_b32_e32 v3, 9
	v_cmp_lt_i16_sdwa s[10:11], v6, v3 src0_sel:BYTE_0 src1_sel:DWORD
	s_and_b64 vcc, exec, s[10:11]
	s_cbranch_vccnz .LBB21_422
; %bb.417:
	v_cmp_gt_i16_sdwa s[10:11], v6, v3 src0_sel:BYTE_0 src1_sel:DWORD
	s_and_b64 vcc, exec, s[10:11]
	s_cbranch_vccz .LBB21_419
; %bb.418:
	v_mov_b32_e32 v10, 0
	v_cvt_f64_f32_e32 v[8:9], v2
	v_mov_b32_e32 v11, v10
	s_mov_b64 s[8:9], 0
	global_store_dwordx4 v[0:1], v[8:11], off
.LBB21_419:
	s_andn2_b64 vcc, exec, s[8:9]
	s_cbranch_vccnz .LBB21_421
; %bb.420:
	v_mov_b32_e32 v3, 0
	global_store_dwordx2 v[0:1], v[2:3], off
.LBB21_421:
	s_mov_b64 s[8:9], 0
.LBB21_422:
	s_andn2_b64 vcc, exec, s[8:9]
	s_cbranch_vccnz .LBB21_424
; %bb.423:
	v_cvt_f16_f32_e32 v3, v2
	global_store_dword v[0:1], v3, off
.LBB21_424:
	s_mov_b64 s[8:9], 0
.LBB21_425:
	s_andn2_b64 vcc, exec, s[8:9]
	s_cbranch_vccnz .LBB21_434
; %bb.426:
	v_mov_b32_e32 v3, 6
	v_cmp_lt_i16_sdwa s[10:11], v6, v3 src0_sel:BYTE_0 src1_sel:DWORD
	s_mov_b64 s[8:9], -1
	s_and_b64 vcc, exec, s[10:11]
	s_cbranch_vccnz .LBB21_432
; %bb.427:
	v_cmp_gt_i16_sdwa s[10:11], v6, v3 src0_sel:BYTE_0 src1_sel:DWORD
	s_and_b64 vcc, exec, s[10:11]
	s_cbranch_vccz .LBB21_429
; %bb.428:
	v_cvt_f64_f32_e32 v[8:9], v2
	s_mov_b64 s[8:9], 0
	global_store_dwordx2 v[0:1], v[8:9], off
.LBB21_429:
	s_andn2_b64 vcc, exec, s[8:9]
	s_cbranch_vccnz .LBB21_431
; %bb.430:
	global_store_dword v[0:1], v2, off
.LBB21_431:
	s_mov_b64 s[8:9], 0
.LBB21_432:
	s_andn2_b64 vcc, exec, s[8:9]
	s_cbranch_vccnz .LBB21_434
; %bb.433:
	v_cvt_f16_f32_e32 v3, v2
	global_store_short v[0:1], v3, off
.LBB21_434:
	s_mov_b64 s[8:9], 0
.LBB21_435:
	s_andn2_b64 vcc, exec, s[8:9]
	s_cbranch_vccnz .LBB21_451
; %bb.436:
	v_mov_b32_e32 v3, 2
	v_cmp_lt_i16_sdwa s[10:11], v6, v3 src0_sel:BYTE_0 src1_sel:DWORD
	s_mov_b64 s[8:9], -1
	s_and_b64 vcc, exec, s[10:11]
	s_cbranch_vccnz .LBB21_446
; %bb.437:
	v_mov_b32_e32 v3, 3
	v_cmp_lt_i16_sdwa s[10:11], v6, v3 src0_sel:BYTE_0 src1_sel:DWORD
	s_and_b64 vcc, exec, s[10:11]
	s_cbranch_vccnz .LBB21_443
; %bb.438:
	v_cmp_gt_i16_sdwa s[10:11], v6, v3 src0_sel:BYTE_0 src1_sel:DWORD
	s_and_b64 vcc, exec, s[10:11]
	s_cbranch_vccz .LBB21_440
; %bb.439:
	v_trunc_f32_e32 v3, v2
	s_mov_b32 s8, 0x2f800000
	v_mul_f32_e64 v5, |v3|, s8
	v_floor_f32_e32 v5, v5
	s_mov_b32 s8, 0xcf800000
	v_cvt_u32_f32_e32 v7, v5
	v_fma_f32 v5, v5, s8, |v3|
	v_cvt_u32_f32_e32 v5, v5
	v_ashrrev_i32_e32 v3, 31, v3
	v_xor_b32_e32 v7, v7, v3
	s_mov_b64 s[8:9], 0
	v_xor_b32_e32 v5, v5, v3
	v_sub_co_u32_e32 v8, vcc, v5, v3
	v_subb_co_u32_e32 v9, vcc, v7, v3, vcc
	global_store_dwordx2 v[0:1], v[8:9], off
.LBB21_440:
	s_andn2_b64 vcc, exec, s[8:9]
	s_cbranch_vccnz .LBB21_442
; %bb.441:
	v_cvt_i32_f32_e32 v3, v2
	global_store_dword v[0:1], v3, off
.LBB21_442:
	s_mov_b64 s[8:9], 0
.LBB21_443:
	s_andn2_b64 vcc, exec, s[8:9]
	s_cbranch_vccnz .LBB21_445
; %bb.444:
	v_cvt_i32_f32_e32 v3, v2
	global_store_short v[0:1], v3, off
.LBB21_445:
	s_mov_b64 s[8:9], 0
.LBB21_446:
	s_andn2_b64 vcc, exec, s[8:9]
	s_cbranch_vccnz .LBB21_451
; %bb.447:
	v_mov_b32_e32 v3, 0
	v_cmp_gt_i16_sdwa s[10:11], v6, v3 src0_sel:BYTE_0 src1_sel:DWORD
	s_mov_b64 s[8:9], -1
	s_and_b64 vcc, exec, s[10:11]
	s_cbranch_vccz .LBB21_449
; %bb.448:
	v_cvt_i32_f32_e32 v3, v2
	s_mov_b64 s[8:9], 0
	global_store_byte v[0:1], v3, off
.LBB21_449:
	s_andn2_b64 vcc, exec, s[8:9]
	s_cbranch_vccnz .LBB21_451
; %bb.450:
	v_trunc_f32_e32 v2, v2
	s_mov_b32 s8, 0x2f800000
	v_mul_f32_e64 v3, |v2|, s8
	v_floor_f32_e32 v3, v3
	s_mov_b32 s8, 0xcf800000
	v_fma_f32 v3, v3, s8, |v2|
	v_cvt_u32_f32_e32 v3, v3
	v_ashrrev_i32_e32 v2, 31, v2
	v_xor_b32_e32 v3, v3, v2
	v_sub_u32_e32 v2, v3, v2
	global_store_byte v[0:1], v2, off
.LBB21_451:
	s_mov_b64 s[8:9], -1
.LBB21_452:
	s_andn2_b64 vcc, exec, s[8:9]
	s_cbranch_vccnz .LBB21_454
; %bb.453:
	v_add_u32_e32 v13, 0x80, v13
	s_mov_b64 s[8:9], -1
	s_branch .LBB21_567
.LBB21_454:
	s_mov_b64 s[8:9], 0
	s_branch .LBB21_566
.LBB21_455:
	s_mov_b64 s[2:3], -1
                                        ; implicit-def: $vgpr1
.LBB21_456:
	s_mov_b64 s[8:9], 0
.LBB21_457:
	s_and_b64 vcc, exec, s[8:9]
	s_cbranch_vccz .LBB21_461
; %bb.458:
	v_cmp_eq_u16_e32 vcc, 29, v4
	s_cbranch_vccz .LBB21_460
; %bb.459:
	global_load_dwordx2 v[8:9], v[2:3], off
	s_mov_b64 s[0:1], -1
	s_mov_b64 s[2:3], 0
	s_mov_b64 s[8:9], 0
	s_waitcnt vmcnt(0)
	v_ffbh_u32_e32 v1, v9
	v_min_u32_e32 v1, 32, v1
	v_lshlrev_b64 v[8:9], v1, v[8:9]
	v_min_u32_e32 v5, 1, v8
	v_or_b32_e32 v5, v9, v5
	v_cvt_f32_u32_e32 v5, v5
	v_sub_u32_e32 v1, 32, v1
	v_ldexp_f32 v1, v5, v1
	s_branch .LBB21_462
.LBB21_460:
	s_mov_b64 s[2:3], -1
                                        ; implicit-def: $vgpr1
.LBB21_461:
	s_mov_b64 s[8:9], 0
.LBB21_462:
	s_and_b64 vcc, exec, s[8:9]
	s_cbranch_vccz .LBB21_480
; %bb.463:
	v_cmp_gt_i16_e32 vcc, 27, v4
	s_cbranch_vccnz .LBB21_466
; %bb.464:
	v_cmp_lt_i16_e32 vcc, 27, v4
	s_cbranch_vccz .LBB21_467
; %bb.465:
	global_load_dword v1, v[2:3], off
	s_mov_b64 s[0:1], 0
	s_waitcnt vmcnt(0)
	v_cvt_f32_u32_e32 v1, v1
	s_branch .LBB21_468
.LBB21_466:
	s_mov_b64 s[0:1], -1
                                        ; implicit-def: $vgpr1
	s_branch .LBB21_471
.LBB21_467:
	s_mov_b64 s[0:1], -1
                                        ; implicit-def: $vgpr1
.LBB21_468:
	s_andn2_b64 vcc, exec, s[0:1]
	s_cbranch_vccnz .LBB21_470
; %bb.469:
	global_load_ushort v1, v[2:3], off
	s_waitcnt vmcnt(0)
	v_cvt_f32_u32_e32 v1, v1
.LBB21_470:
	s_mov_b64 s[0:1], 0
.LBB21_471:
	s_andn2_b64 vcc, exec, s[0:1]
	s_cbranch_vccnz .LBB21_479
; %bb.472:
	global_load_ubyte v5, v[2:3], off
	s_movk_i32 s0, 0x7f
                                        ; implicit-def: $sgpr12
	s_waitcnt vmcnt(0)
	v_cmp_lt_i16_e32 vcc, s0, v5
	s_mov_b64 s[0:1], 0
	s_and_saveexec_b64 s[8:9], vcc
	s_xor_b64 s[8:9], exec, s[8:9]
	s_cbranch_execz .LBB21_493
; %bb.473:
	s_movk_i32 s0, 0x80
	v_cmp_eq_u16_e32 vcc, s0, v5
	s_mov_b64 s[0:1], -1
                                        ; implicit-def: $sgpr12
	s_and_saveexec_b64 s[10:11], vcc
; %bb.474:
	s_mov_b32 s12, 0x7f800001
	s_xor_b64 s[0:1], exec, -1
; %bb.475:
	s_or_b64 exec, exec, s[10:11]
	s_and_b64 s[0:1], s[0:1], exec
	s_or_saveexec_b64 s[8:9], s[8:9]
	v_mov_b32_e32 v1, s12
	s_xor_b64 exec, exec, s[8:9]
	s_cbranch_execnz .LBB21_494
.LBB21_476:
	s_or_b64 exec, exec, s[8:9]
	s_and_saveexec_b64 s[8:9], s[0:1]
	s_cbranch_execz .LBB21_478
.LBB21_477:
	v_lshlrev_b32_e32 v1, 24, v5
	v_and_b32_e32 v5, 0xffff, v5
	v_and_b32_e32 v7, 7, v5
	v_ffbh_u32_e32 v9, v7
	v_min_u32_e32 v9, 32, v9
	v_subrev_u32_e32 v10, 28, v9
	v_bfe_u32 v8, v5, 3, 4
	v_lshlrev_b32_e32 v5, v10, v5
	v_sub_u32_e32 v9, 29, v9
	v_and_b32_e32 v5, 7, v5
	v_cmp_eq_u32_e32 vcc, 0, v8
	v_cndmask_b32_e32 v8, v8, v9, vcc
	v_cndmask_b32_e32 v5, v7, v5, vcc
	v_mov_b32_e32 v7, 0x3b800000
	v_lshlrev_b32_e32 v5, 20, v5
	v_and_b32_e32 v1, 0x80000000, v1
	v_lshl_add_u32 v7, v8, 23, v7
	v_or3_b32 v1, v1, v7, v5
.LBB21_478:
	s_or_b64 exec, exec, s[8:9]
.LBB21_479:
	s_mov_b64 s[0:1], -1
.LBB21_480:
	s_mov_b64 s[8:9], 0
.LBB21_481:
	s_and_b64 vcc, exec, s[8:9]
	s_cbranch_vccz .LBB21_516
; %bb.482:
	v_cmp_lt_i16_e32 vcc, 22, v4
	s_cbranch_vccz .LBB21_492
; %bb.483:
	v_cmp_gt_i16_e32 vcc, 24, v4
	s_cbranch_vccnz .LBB21_495
; %bb.484:
	v_cmp_lt_i16_e32 vcc, 24, v4
	s_cbranch_vccz .LBB21_496
; %bb.485:
	global_load_ubyte v5, v[2:3], off
	s_movk_i32 s0, 0x7f
                                        ; implicit-def: $sgpr12
	s_waitcnt vmcnt(0)
	v_cmp_lt_i16_e32 vcc, s0, v5
	s_mov_b64 s[0:1], 0
	s_and_saveexec_b64 s[8:9], vcc
	s_xor_b64 s[8:9], exec, s[8:9]
	s_cbranch_execz .LBB21_508
; %bb.486:
	s_movk_i32 s0, 0x80
	v_cmp_eq_u16_e32 vcc, s0, v5
	s_mov_b64 s[0:1], -1
                                        ; implicit-def: $sgpr12
	s_and_saveexec_b64 s[10:11], vcc
; %bb.487:
	s_mov_b32 s12, 0x7f800001
	s_xor_b64 s[0:1], exec, -1
; %bb.488:
	s_or_b64 exec, exec, s[10:11]
	s_and_b64 s[0:1], s[0:1], exec
	s_or_saveexec_b64 s[8:9], s[8:9]
	v_mov_b32_e32 v1, s12
	s_xor_b64 exec, exec, s[8:9]
	s_cbranch_execnz .LBB21_509
.LBB21_489:
	s_or_b64 exec, exec, s[8:9]
	s_and_saveexec_b64 s[8:9], s[0:1]
	s_cbranch_execz .LBB21_491
.LBB21_490:
	v_lshlrev_b32_e32 v1, 24, v5
	v_and_b32_e32 v5, 0xffff, v5
	v_and_b32_e32 v7, 3, v5
	v_ffbh_u32_e32 v9, v7
	v_min_u32_e32 v9, 32, v9
	v_subrev_u32_e32 v10, 29, v9
	v_bfe_u32 v8, v5, 2, 5
	v_lshlrev_b32_e32 v5, v10, v5
	v_sub_u32_e32 v9, 30, v9
	v_and_b32_e32 v5, 3, v5
	v_cmp_eq_u32_e32 vcc, 0, v8
	v_cndmask_b32_e32 v8, v8, v9, vcc
	v_cndmask_b32_e32 v5, v7, v5, vcc
	v_mov_b32_e32 v7, 0x37800000
	v_lshlrev_b32_e32 v5, 21, v5
	v_and_b32_e32 v1, 0x80000000, v1
	v_lshl_add_u32 v7, v8, 23, v7
	v_or3_b32 v1, v1, v7, v5
.LBB21_491:
	s_or_b64 exec, exec, s[8:9]
	s_mov_b64 s[0:1], 0
	s_branch .LBB21_497
.LBB21_492:
	s_mov_b64 s[8:9], -1
                                        ; implicit-def: $vgpr1
	s_branch .LBB21_503
.LBB21_493:
	s_or_saveexec_b64 s[8:9], s[8:9]
	v_mov_b32_e32 v1, s12
	s_xor_b64 exec, exec, s[8:9]
	s_cbranch_execz .LBB21_476
.LBB21_494:
	v_cmp_ne_u16_e32 vcc, 0, v5
	s_andn2_b64 s[0:1], s[0:1], exec
	s_and_b64 s[10:11], vcc, exec
	v_mov_b32_e32 v1, 0
	s_or_b64 s[0:1], s[0:1], s[10:11]
	s_or_b64 exec, exec, s[8:9]
	s_and_saveexec_b64 s[8:9], s[0:1]
	s_cbranch_execnz .LBB21_477
	s_branch .LBB21_478
.LBB21_495:
	s_mov_b64 s[0:1], -1
                                        ; implicit-def: $vgpr1
	s_branch .LBB21_500
.LBB21_496:
	s_mov_b64 s[0:1], -1
                                        ; implicit-def: $vgpr1
.LBB21_497:
	s_and_b64 vcc, exec, s[0:1]
	s_cbranch_vccz .LBB21_499
; %bb.498:
	global_load_ubyte v1, v[2:3], off
	s_mov_b32 s0, 0x7f800000
	s_waitcnt vmcnt(0)
	v_lshlrev_b32_e32 v1, 24, v1
	v_and_b32_e32 v5, 0x7f000000, v1
	v_ffbh_u32_e32 v7, v5
	v_min_u32_e32 v7, 32, v7
	v_sub_u32_e64 v7, v7, 4 clamp
	v_lshlrev_b32_e32 v9, v7, v5
	v_lshlrev_b32_e32 v7, 23, v7
	v_lshrrev_b32_e32 v9, 4, v9
	v_add_u32_e32 v8, 0x1000000, v5
	v_sub_u32_e32 v7, v9, v7
	v_ashrrev_i32_e32 v8, 8, v8
	v_add_u32_e32 v7, 0x3c000000, v7
	v_and_or_b32 v7, v8, s0, v7
	v_cmp_ne_u32_e32 vcc, 0, v5
	v_cndmask_b32_e32 v5, 0, v7, vcc
	s_brev_b32 s0, 1
	v_and_or_b32 v1, v1, s0, v5
.LBB21_499:
	s_mov_b64 s[0:1], 0
.LBB21_500:
	s_andn2_b64 vcc, exec, s[0:1]
	s_cbranch_vccnz .LBB21_502
; %bb.501:
	global_load_ubyte v1, v[2:3], off
	s_movk_i32 s0, 0x7f00
	s_brev_b32 s1, 16
	s_waitcnt vmcnt(0)
	v_lshlrev_b16_e32 v5, 8, v1
	v_lshlrev_b32_e32 v1, 25, v1
	v_lshrrev_b32_e32 v7, 4, v1
	v_and_or_b32 v8, v5, s0, 0.5
	v_or_b32_e32 v7, 0x70000000, v7
	v_add_f32_e32 v8, -0.5, v8
	v_mul_f32_e32 v7, 0x7800000, v7
	v_cmp_gt_u32_e32 vcc, s1, v1
	v_bfe_i32 v5, v5, 0, 16
	v_cndmask_b32_e32 v1, v7, v8, vcc
	s_brev_b32 s0, 1
	v_and_or_b32 v1, v5, s0, v1
.LBB21_502:
	s_mov_b64 s[8:9], 0
	s_mov_b64 s[0:1], -1
.LBB21_503:
	s_andn2_b64 vcc, exec, s[8:9]
	s_cbranch_vccnz .LBB21_516
; %bb.504:
	v_cmp_lt_i16_e32 vcc, 14, v4
	s_cbranch_vccz .LBB21_507
; %bb.505:
	v_cmp_eq_u16_e32 vcc, 15, v4
	s_cbranch_vccz .LBB21_510
; %bb.506:
	global_load_ushort v1, v[2:3], off
	s_mov_b64 s[0:1], -1
	s_mov_b64 s[2:3], 0
	s_waitcnt vmcnt(0)
	v_lshlrev_b32_e32 v1, 16, v1
	s_branch .LBB21_511
.LBB21_507:
	s_mov_b64 s[8:9], -1
                                        ; implicit-def: $vgpr1
	s_branch .LBB21_512
.LBB21_508:
	s_or_saveexec_b64 s[8:9], s[8:9]
	v_mov_b32_e32 v1, s12
	s_xor_b64 exec, exec, s[8:9]
	s_cbranch_execz .LBB21_489
.LBB21_509:
	v_cmp_ne_u16_e32 vcc, 0, v5
	s_andn2_b64 s[0:1], s[0:1], exec
	s_and_b64 s[10:11], vcc, exec
	v_mov_b32_e32 v1, 0
	s_or_b64 s[0:1], s[0:1], s[10:11]
	s_or_b64 exec, exec, s[8:9]
	s_and_saveexec_b64 s[8:9], s[0:1]
	s_cbranch_execnz .LBB21_490
	s_branch .LBB21_491
.LBB21_510:
	s_mov_b64 s[2:3], -1
                                        ; implicit-def: $vgpr1
.LBB21_511:
	s_mov_b64 s[8:9], 0
.LBB21_512:
	s_and_b64 vcc, exec, s[8:9]
	s_cbranch_vccz .LBB21_516
; %bb.513:
	v_cmp_eq_u16_e32 vcc, 11, v4
	s_cbranch_vccz .LBB21_515
; %bb.514:
	global_load_ubyte v1, v[2:3], off
	s_mov_b64 s[0:1], -1
	s_mov_b64 s[2:3], 0
	s_waitcnt vmcnt(0)
	v_cmp_ne_u16_e32 vcc, 0, v1
	v_cndmask_b32_e64 v1, 0, 1.0, vcc
	s_branch .LBB21_516
.LBB21_515:
	s_mov_b64 s[2:3], -1
                                        ; implicit-def: $vgpr1
.LBB21_516:
	s_branch .LBB21_307
.LBB21_517:
	v_cmp_gt_i16_e32 vcc, 5, v4
	s_cbranch_vccnz .LBB21_522
; %bb.518:
	v_cmp_gt_i16_e32 vcc, 8, v4
	s_cbranch_vccnz .LBB21_523
; %bb.519:
	;; [unrolled: 3-line block ×3, first 2 shown]
	v_cmp_lt_i16_e32 vcc, 9, v4
	s_cbranch_vccz .LBB21_525
; %bb.521:
	global_load_dwordx2 v[8:9], v[2:3], off
	s_mov_b64 s[0:1], 0
	s_waitcnt vmcnt(0)
	v_cvt_f32_f64_e32 v1, v[8:9]
	s_branch .LBB21_526
.LBB21_522:
	s_mov_b64 s[0:1], -1
                                        ; implicit-def: $vgpr1
	s_branch .LBB21_544
.LBB21_523:
	s_mov_b64 s[0:1], -1
                                        ; implicit-def: $vgpr1
	s_branch .LBB21_532
.LBB21_524:
	s_mov_b64 s[0:1], -1
                                        ; implicit-def: $vgpr1
	s_branch .LBB21_529
.LBB21_525:
	s_mov_b64 s[0:1], -1
                                        ; implicit-def: $vgpr1
.LBB21_526:
	s_andn2_b64 vcc, exec, s[0:1]
	s_cbranch_vccnz .LBB21_528
; %bb.527:
	global_load_dword v1, v[2:3], off
.LBB21_528:
	s_mov_b64 s[0:1], 0
.LBB21_529:
	s_andn2_b64 vcc, exec, s[0:1]
	s_cbranch_vccnz .LBB21_531
; %bb.530:
	global_load_dword v1, v[2:3], off
	s_waitcnt vmcnt(0)
	v_cvt_f32_f16_e32 v1, v1
.LBB21_531:
	s_mov_b64 s[0:1], 0
.LBB21_532:
	s_andn2_b64 vcc, exec, s[0:1]
	s_cbranch_vccnz .LBB21_543
; %bb.533:
	v_cmp_gt_i16_e32 vcc, 6, v4
	s_cbranch_vccnz .LBB21_536
; %bb.534:
	v_cmp_lt_i16_e32 vcc, 6, v4
	s_cbranch_vccz .LBB21_537
; %bb.535:
	global_load_dwordx2 v[8:9], v[2:3], off
	s_mov_b64 s[0:1], 0
	s_waitcnt vmcnt(0)
	v_cvt_f32_f64_e32 v1, v[8:9]
	s_branch .LBB21_538
.LBB21_536:
	s_mov_b64 s[0:1], -1
                                        ; implicit-def: $vgpr1
	s_branch .LBB21_541
.LBB21_537:
	s_mov_b64 s[0:1], -1
                                        ; implicit-def: $vgpr1
.LBB21_538:
	s_andn2_b64 vcc, exec, s[0:1]
	s_cbranch_vccnz .LBB21_540
; %bb.539:
	global_load_dword v1, v[2:3], off
.LBB21_540:
	s_mov_b64 s[0:1], 0
.LBB21_541:
	s_andn2_b64 vcc, exec, s[0:1]
	s_cbranch_vccnz .LBB21_543
; %bb.542:
	global_load_ushort v1, v[2:3], off
	s_waitcnt vmcnt(0)
	v_cvt_f32_f16_e32 v1, v1
.LBB21_543:
	s_mov_b64 s[0:1], 0
.LBB21_544:
	s_andn2_b64 vcc, exec, s[0:1]
	s_cbranch_vccnz .LBB21_564
; %bb.545:
	v_cmp_gt_i16_e32 vcc, 2, v4
	s_cbranch_vccnz .LBB21_549
; %bb.546:
	v_cmp_gt_i16_e32 vcc, 3, v4
	s_cbranch_vccnz .LBB21_550
; %bb.547:
	v_cmp_lt_i16_e32 vcc, 3, v4
	s_cbranch_vccz .LBB21_551
; %bb.548:
	global_load_dwordx2 v[8:9], v[2:3], off
	s_mov_b64 s[0:1], 0
	s_waitcnt vmcnt(0)
	v_xor_b32_e32 v5, v8, v9
	v_ffbh_i32_e32 v1, v9
	v_ashrrev_i32_e32 v5, 31, v5
	v_add_u32_e32 v1, -1, v1
	v_add_u32_e32 v5, 32, v5
	v_min_u32_e32 v1, v1, v5
	v_lshlrev_b64 v[8:9], v1, v[8:9]
	v_min_u32_e32 v5, 1, v8
	v_or_b32_e32 v5, v9, v5
	v_cvt_f32_i32_e32 v5, v5
	v_sub_u32_e32 v1, 32, v1
	v_ldexp_f32 v1, v5, v1
	s_branch .LBB21_552
.LBB21_549:
	s_mov_b64 s[0:1], -1
                                        ; implicit-def: $vgpr1
	s_branch .LBB21_558
.LBB21_550:
	s_mov_b64 s[0:1], -1
                                        ; implicit-def: $vgpr1
	s_branch .LBB21_555
.LBB21_551:
	s_mov_b64 s[0:1], -1
                                        ; implicit-def: $vgpr1
.LBB21_552:
	s_andn2_b64 vcc, exec, s[0:1]
	s_cbranch_vccnz .LBB21_554
; %bb.553:
	global_load_dword v1, v[2:3], off
	s_waitcnt vmcnt(0)
	v_cvt_f32_i32_e32 v1, v1
.LBB21_554:
	s_mov_b64 s[0:1], 0
.LBB21_555:
	s_andn2_b64 vcc, exec, s[0:1]
	s_cbranch_vccnz .LBB21_557
; %bb.556:
	global_load_sshort v1, v[2:3], off
	s_waitcnt vmcnt(0)
	v_cvt_f32_i32_e32 v1, v1
.LBB21_557:
	s_mov_b64 s[0:1], 0
.LBB21_558:
	s_andn2_b64 vcc, exec, s[0:1]
	s_cbranch_vccnz .LBB21_564
; %bb.559:
	v_cmp_lt_i16_e32 vcc, 0, v4
	s_cbranch_vccz .LBB21_561
; %bb.560:
	global_load_sbyte v1, v[2:3], off
	s_mov_b64 s[0:1], 0
	s_waitcnt vmcnt(0)
	v_cvt_f32_i32_e32 v1, v1
	s_branch .LBB21_562
.LBB21_561:
	s_mov_b64 s[0:1], -1
                                        ; implicit-def: $vgpr1
.LBB21_562:
	s_andn2_b64 vcc, exec, s[0:1]
	s_cbranch_vccnz .LBB21_564
; %bb.563:
	global_load_ubyte v1, v[2:3], off
	s_waitcnt vmcnt(0)
	v_cvt_f32_ubyte0_e32 v1, v1
.LBB21_564:
	s_branch .LBB21_308
.LBB21_565:
	s_mov_b64 s[8:9], 0
	s_mov_b64 s[0:1], s[52:53]
.LBB21_566:
                                        ; implicit-def: $vgpr13
.LBB21_567:
	s_andn2_b64 s[10:11], s[52:53], exec
	s_and_b64 s[0:1], s[0:1], exec
	s_or_b64 s[60:61], s[10:11], s[0:1]
	s_andn2_b64 s[0:1], s[54:55], exec
	s_and_b64 s[2:3], s[2:3], exec
	s_or_b64 s[58:59], s[0:1], s[2:3]
	s_orn2_b64 s[0:1], s[8:9], exec
.LBB21_568:
	s_or_b64 exec, exec, s[62:63]
	s_mov_b64 s[2:3], 0
	s_mov_b64 s[8:9], 0
	s_mov_b64 s[10:11], 0
                                        ; implicit-def: $vgpr2_vgpr3
                                        ; implicit-def: $vgpr0
                                        ; implicit-def: $vgpr1
	s_and_saveexec_b64 s[62:63], s[0:1]
	s_cbranch_execz .LBB21_957
; %bb.569:
	v_cmp_gt_i32_e32 vcc, s72, v13
	s_mov_b64 s[2:3], -1
	s_mov_b64 s[66:67], s[58:59]
	s_mov_b64 s[68:69], s[60:61]
	s_and_saveexec_b64 s[64:65], vcc
	s_cbranch_execz .LBB21_856
; %bb.570:
	s_andn2_b64 vcc, exec, s[40:41]
	s_cbranch_vccnz .LBB21_576
; %bb.571:
	s_mov_b32 s66, 0
	s_andn2_b64 vcc, exec, s[50:51]
	v_mov_b32_e32 v2, 0
	v_mov_b32_e32 v0, 0
	s_cbranch_vccnz .LBB21_582
; %bb.572:
	s_add_i32 s75, s73, 1
	s_cmp_eq_u32 s74, 2
	s_cbranch_scc1 .LBB21_577
; %bb.573:
	s_and_b32 s66, s75, 28
	s_mov_b32 s67, 0
	v_mov_b32_e32 v0, 0
	s_mov_b64 s[68:69], s[34:35]
	s_mov_b64 s[70:71], s[48:49]
	v_mov_b32_e32 v3, v13
	v_mov_b32_e32 v2, 0
.LBB21_574:                             ; =>This Inner Loop Header: Depth=1
	s_load_dwordx8 s[16:23], s[68:69], 0x4
	s_load_dwordx4 s[0:3], s[68:69], 0x24
	s_load_dwordx8 s[8:15], s[70:71], 0x0
	s_add_u32 s68, s68, 48
	s_addc_u32 s69, s69, 0
	s_waitcnt vmcnt(0) lgkmcnt(0)
	v_mul_hi_u32 v1, s17, v3
	v_add_u32_e32 v1, v3, v1
	v_lshrrev_b32_e32 v1, s18, v1
	v_mul_lo_u32 v5, v1, s16
	v_mul_hi_u32 v7, s20, v1
	v_sub_u32_e32 v3, v3, v5
	v_add_u32_e32 v5, v1, v7
	v_lshrrev_b32_e32 v5, s21, v5
	v_mul_lo_u32 v8, v5, s19
	v_mul_hi_u32 v9, s23, v5
	v_sub_u32_e32 v1, v1, v8
	v_add_u32_e32 v8, v5, v9
	v_mul_lo_u32 v7, v3, s9
	v_mul_lo_u32 v3, v3, s8
	;; [unrolled: 1-line block ×4, first 2 shown]
	v_lshrrev_b32_e32 v8, s0, v8
	v_add3_u32 v0, v3, v0, v1
	v_mul_hi_u32 v3, s2, v8
	v_add_u32_e32 v3, v8, v3
	v_lshrrev_b32_e32 v3, s3, v3
	s_add_i32 s67, s67, 4
	v_add3_u32 v1, v7, v2, v9
	v_mul_lo_u32 v2, v8, s22
	v_mul_lo_u32 v7, v3, s1
	s_add_u32 s70, s70, 32
	v_sub_u32_e32 v2, v5, v2
	v_sub_u32_e32 v7, v8, v7
	s_addc_u32 s71, s71, 0
	v_mul_lo_u32 v5, v2, s12
	v_mul_lo_u32 v2, v2, s13
	;; [unrolled: 1-line block ×4, first 2 shown]
	s_cmp_eq_u32 s66, s67
	v_add3_u32 v2, v2, v1, v7
	v_add3_u32 v0, v5, v0, v8
	s_cbranch_scc0 .LBB21_574
; %bb.575:
	v_mov_b32_e32 v1, v2
	s_branch .LBB21_578
.LBB21_576:
	s_mov_b64 s[0:1], -1
                                        ; implicit-def: $vgpr2
                                        ; implicit-def: $vgpr0
	s_branch .LBB21_583
.LBB21_577:
	s_mov_b32 s67, s66
	s_waitcnt vmcnt(0)
	v_pk_mov_b32 v[0:1], s[66:67], s[66:67] op_sel:[0,1]
                                        ; implicit-def: $vgpr2
	v_mov_b32_e32 v3, v13
.LBB21_578:
	s_and_b32 s8, s75, 3
	s_cmp_eq_u32 s8, 0
	s_cbranch_scc1 .LBB21_582
; %bb.579:
	s_lshl_b32 s0, s66, 3
	s_add_u32 s0, s0, s34
	s_addc_u32 s1, s35, 0
	s_add_u32 s0, s0, 0xc4
	s_addc_u32 s1, s1, 0
	s_mul_i32 s2, s66, 12
	s_add_u32 s2, s34, s2
	s_addc_u32 s3, s35, 0
.LBB21_580:                             ; =>This Inner Loop Header: Depth=1
	s_load_dwordx2 s[10:11], s[2:3], 0x4
	s_load_dword s9, s[2:3], 0xc
	s_load_dwordx2 s[12:13], s[0:1], 0x0
	v_mov_b32_e32 v2, v1
	s_add_u32 s2, s2, 12
	s_waitcnt lgkmcnt(0)
	v_mul_hi_u32 v1, s11, v3
	v_add_u32_e32 v1, v3, v1
	v_lshrrev_b32_e32 v1, s9, v1
	s_addc_u32 s3, s3, 0
	v_mul_lo_u32 v5, v1, s10
	s_add_u32 s0, s0, 8
	v_sub_u32_e32 v5, v3, v5
	v_mov_b32_e32 v3, v1
	s_addc_u32 s1, s1, 0
	s_add_i32 s8, s8, -1
	v_mad_u64_u32 v[8:9], s[10:11], v5, s13, v[2:3]
	v_mad_u64_u32 v[0:1], s[10:11], v5, s12, v[0:1]
	s_cmp_lg_u32 s8, 0
	v_mov_b32_e32 v1, v8
	s_cbranch_scc1 .LBB21_580
; %bb.581:
	v_mov_b32_e32 v2, v1
.LBB21_582:
	s_mov_b64 s[0:1], 0
.LBB21_583:
	s_andn2_b64 vcc, exec, s[0:1]
	s_cbranch_vccnz .LBB21_586
; %bb.584:
	s_waitcnt lgkmcnt(0)
	v_mul_hi_u32 v0, s37, v13
	v_add_u32_e32 v0, v13, v0
	s_waitcnt vmcnt(0)
	v_lshrrev_b32_e32 v1, s38, v0
	v_mul_lo_u32 v0, v1, s36
	v_sub_u32_e32 v0, v13, v0
	v_mul_lo_u32 v2, v0, s29
	s_andn2_b64 vcc, exec, s[46:47]
	v_mul_lo_u32 v0, v0, s28
	s_cbranch_vccnz .LBB21_586
; %bb.585:
	v_mul_hi_u32 v3, s44, v1
	v_add_u32_e32 v3, v1, v3
	v_lshrrev_b32_e32 v3, s45, v3
	v_mul_lo_u32 v3, v3, s39
	v_sub_u32_e32 v3, v1, v3
	v_mad_u64_u32 v[0:1], s[0:1], v3, s30, v[0:1]
	v_mad_u64_u32 v[2:3], s[0:1], v3, s31, v[2:3]
.LBB21_586:
	s_waitcnt vmcnt(0) lgkmcnt(0)
	v_mov_b32_e32 v1, s27
	v_add_co_u32_e32 v2, vcc, s26, v2
	v_addc_co_u32_e32 v3, vcc, 0, v1, vcc
	v_cmp_gt_i16_e32 vcc, 11, v4
	s_cbranch_vccnz .LBB21_593
; %bb.587:
	v_cmp_lt_i16_e32 vcc, 25, v4
	s_cbranch_vccz .LBB21_594
; %bb.588:
	v_cmp_lt_i16_e32 vcc, 28, v4
	s_cbranch_vccz .LBB21_595
	;; [unrolled: 3-line block ×4, first 2 shown]
; %bb.591:
	v_cmp_eq_u16_e32 vcc, 46, v4
	s_mov_b64 s[8:9], 0
	s_cbranch_vccz .LBB21_602
; %bb.592:
	global_load_dword v1, v[2:3], off
	s_mov_b64 s[0:1], -1
	s_mov_b64 s[2:3], 0
	s_waitcnt vmcnt(0)
	v_lshlrev_b32_e32 v1, 16, v1
	s_branch .LBB21_603
.LBB21_593:
	s_mov_b64 s[8:9], -1
	s_mov_b64 s[0:1], 0
                                        ; implicit-def: $vgpr1
	s_mov_b64 s[2:3], s[58:59]
	s_branch .LBB21_668
.LBB21_594:
	s_mov_b64 s[8:9], -1
	s_mov_b64 s[0:1], 0
	s_mov_b64 s[2:3], s[58:59]
                                        ; implicit-def: $vgpr1
	s_branch .LBB21_632
.LBB21_595:
	s_mov_b64 s[8:9], -1
	s_mov_b64 s[0:1], 0
	s_mov_b64 s[2:3], s[58:59]
                                        ; implicit-def: $vgpr1
	s_branch .LBB21_613
.LBB21_596:
	s_mov_b64 s[8:9], -1
	s_mov_b64 s[0:1], 0
	s_mov_b64 s[2:3], s[58:59]
                                        ; implicit-def: $vgpr1
	s_branch .LBB21_608
.LBB21_597:
	s_or_saveexec_b64 s[12:13], s[12:13]
                                        ; implicit-def: $sgpr14
	s_xor_b64 exec, exec, s[12:13]
	s_cbranch_execz .LBB21_365
.LBB21_598:
	s_mov_b32 s14, 0x46000000
	v_add_f32_e64 v3, |v2|, s14
	v_and_b32_e32 v3, 0xff, v3
	v_cmp_ne_u32_e32 vcc, 0, v3
	s_andn2_b64 s[10:11], s[10:11], exec
	s_and_b64 s[16:17], vcc, exec
	s_mov_b32 s14, 0
	s_or_b64 s[10:11], s[10:11], s[16:17]
	s_or_b64 exec, exec, s[12:13]
	v_mov_b32_e32 v5, s14
	s_and_saveexec_b64 s[12:13], s[10:11]
	s_cbranch_execnz .LBB21_366
	s_branch .LBB21_367
.LBB21_599:
	s_mov_b64 s[8:9], -1
	s_mov_b64 s[0:1], 0
	s_mov_b64 s[2:3], s[58:59]
                                        ; implicit-def: $vgpr1
	s_branch .LBB21_603
.LBB21_600:
	s_or_saveexec_b64 s[12:13], s[12:13]
                                        ; implicit-def: $sgpr14
	s_xor_b64 exec, exec, s[12:13]
	s_cbranch_execz .LBB21_378
.LBB21_601:
	s_mov_b32 s14, 0x42800000
	v_add_f32_e64 v3, |v2|, s14
	v_and_b32_e32 v3, 0xff, v3
	v_cmp_ne_u32_e32 vcc, 0, v3
	s_andn2_b64 s[10:11], s[10:11], exec
	s_and_b64 s[16:17], vcc, exec
	s_mov_b32 s14, 0
	s_or_b64 s[10:11], s[10:11], s[16:17]
	s_or_b64 exec, exec, s[12:13]
	v_mov_b32_e32 v5, s14
	s_and_saveexec_b64 s[12:13], s[10:11]
	s_cbranch_execnz .LBB21_379
	s_branch .LBB21_380
.LBB21_602:
	s_mov_b64 s[2:3], -1
                                        ; implicit-def: $vgpr1
	s_mov_b64 s[0:1], 0
.LBB21_603:
	s_and_b64 vcc, exec, s[8:9]
	s_cbranch_vccz .LBB21_607
; %bb.604:
	v_cmp_eq_u16_e32 vcc, 44, v4
	s_cbranch_vccz .LBB21_606
; %bb.605:
	global_load_ubyte v1, v[2:3], off
	s_movk_i32 s2, 0xff
	v_mov_b32_e32 v5, 0x7f800001
	v_mov_b32_e32 v7, 0x400000
	s_mov_b64 s[0:1], -1
	s_waitcnt vmcnt(0)
	v_lshlrev_b32_e32 v8, 23, v1
	v_cmp_ne_u32_e32 vcc, s2, v1
	v_cndmask_b32_e32 v5, v5, v8, vcc
	v_cmp_ne_u32_e32 vcc, 0, v1
	v_cndmask_b32_e32 v1, v7, v5, vcc
	s_mov_b64 s[2:3], 0
	s_branch .LBB21_607
.LBB21_606:
	s_mov_b64 s[2:3], -1
                                        ; implicit-def: $vgpr1
.LBB21_607:
	s_mov_b64 s[8:9], 0
.LBB21_608:
	s_and_b64 vcc, exec, s[8:9]
	s_cbranch_vccz .LBB21_612
; %bb.609:
	v_cmp_eq_u16_e32 vcc, 29, v4
	s_cbranch_vccz .LBB21_611
; %bb.610:
	global_load_dwordx2 v[8:9], v[2:3], off
	s_mov_b64 s[0:1], -1
	s_mov_b64 s[2:3], 0
	s_mov_b64 s[8:9], 0
	s_waitcnt vmcnt(0)
	v_ffbh_u32_e32 v1, v9
	v_min_u32_e32 v1, 32, v1
	v_lshlrev_b64 v[8:9], v1, v[8:9]
	v_min_u32_e32 v5, 1, v8
	v_or_b32_e32 v5, v9, v5
	v_cvt_f32_u32_e32 v5, v5
	v_sub_u32_e32 v1, 32, v1
	v_ldexp_f32 v1, v5, v1
	s_branch .LBB21_613
.LBB21_611:
	s_mov_b64 s[2:3], -1
                                        ; implicit-def: $vgpr1
.LBB21_612:
	s_mov_b64 s[8:9], 0
.LBB21_613:
	s_and_b64 vcc, exec, s[8:9]
	s_cbranch_vccz .LBB21_631
; %bb.614:
	v_cmp_gt_i16_e32 vcc, 27, v4
	s_cbranch_vccnz .LBB21_617
; %bb.615:
	v_cmp_lt_i16_e32 vcc, 27, v4
	s_cbranch_vccz .LBB21_618
; %bb.616:
	global_load_dword v1, v[2:3], off
	s_mov_b64 s[0:1], 0
	s_waitcnt vmcnt(0)
	v_cvt_f32_u32_e32 v1, v1
	s_branch .LBB21_619
.LBB21_617:
	s_mov_b64 s[0:1], -1
                                        ; implicit-def: $vgpr1
	s_branch .LBB21_622
.LBB21_618:
	s_mov_b64 s[0:1], -1
                                        ; implicit-def: $vgpr1
.LBB21_619:
	s_andn2_b64 vcc, exec, s[0:1]
	s_cbranch_vccnz .LBB21_621
; %bb.620:
	global_load_ushort v1, v[2:3], off
	s_waitcnt vmcnt(0)
	v_cvt_f32_u32_e32 v1, v1
.LBB21_621:
	s_mov_b64 s[0:1], 0
.LBB21_622:
	s_andn2_b64 vcc, exec, s[0:1]
	s_cbranch_vccnz .LBB21_630
; %bb.623:
	global_load_ubyte v5, v[2:3], off
	s_movk_i32 s0, 0x7f
                                        ; implicit-def: $sgpr12
	s_waitcnt vmcnt(0)
	v_cmp_lt_i16_e32 vcc, s0, v5
	s_mov_b64 s[0:1], 0
	s_and_saveexec_b64 s[8:9], vcc
	s_xor_b64 s[8:9], exec, s[8:9]
	s_cbranch_execz .LBB21_644
; %bb.624:
	s_movk_i32 s0, 0x80
	v_cmp_eq_u16_e32 vcc, s0, v5
	s_mov_b64 s[0:1], -1
                                        ; implicit-def: $sgpr12
	s_and_saveexec_b64 s[10:11], vcc
; %bb.625:
	s_mov_b32 s12, 0x7f800001
	s_xor_b64 s[0:1], exec, -1
; %bb.626:
	s_or_b64 exec, exec, s[10:11]
	s_and_b64 s[0:1], s[0:1], exec
	s_or_saveexec_b64 s[8:9], s[8:9]
	v_mov_b32_e32 v1, s12
	s_xor_b64 exec, exec, s[8:9]
	s_cbranch_execnz .LBB21_645
.LBB21_627:
	s_or_b64 exec, exec, s[8:9]
	s_and_saveexec_b64 s[8:9], s[0:1]
	s_cbranch_execz .LBB21_629
.LBB21_628:
	v_lshlrev_b32_e32 v1, 24, v5
	v_and_b32_e32 v5, 0xffff, v5
	v_and_b32_e32 v7, 7, v5
	v_ffbh_u32_e32 v9, v7
	v_min_u32_e32 v9, 32, v9
	v_subrev_u32_e32 v10, 28, v9
	v_bfe_u32 v8, v5, 3, 4
	v_lshlrev_b32_e32 v5, v10, v5
	v_sub_u32_e32 v9, 29, v9
	v_and_b32_e32 v5, 7, v5
	v_cmp_eq_u32_e32 vcc, 0, v8
	v_cndmask_b32_e32 v8, v8, v9, vcc
	v_cndmask_b32_e32 v5, v7, v5, vcc
	v_mov_b32_e32 v7, 0x3b800000
	v_lshlrev_b32_e32 v5, 20, v5
	v_and_b32_e32 v1, 0x80000000, v1
	v_lshl_add_u32 v7, v8, 23, v7
	v_or3_b32 v1, v1, v7, v5
.LBB21_629:
	s_or_b64 exec, exec, s[8:9]
.LBB21_630:
	s_mov_b64 s[0:1], -1
.LBB21_631:
	s_mov_b64 s[8:9], 0
.LBB21_632:
	s_and_b64 vcc, exec, s[8:9]
	s_cbranch_vccz .LBB21_667
; %bb.633:
	v_cmp_lt_i16_e32 vcc, 22, v4
	s_cbranch_vccz .LBB21_643
; %bb.634:
	v_cmp_gt_i16_e32 vcc, 24, v4
	s_cbranch_vccnz .LBB21_646
; %bb.635:
	v_cmp_lt_i16_e32 vcc, 24, v4
	s_cbranch_vccz .LBB21_647
; %bb.636:
	global_load_ubyte v5, v[2:3], off
	s_movk_i32 s0, 0x7f
                                        ; implicit-def: $sgpr12
	s_waitcnt vmcnt(0)
	v_cmp_lt_i16_e32 vcc, s0, v5
	s_mov_b64 s[0:1], 0
	s_and_saveexec_b64 s[8:9], vcc
	s_xor_b64 s[8:9], exec, s[8:9]
	s_cbranch_execz .LBB21_659
; %bb.637:
	s_movk_i32 s0, 0x80
	v_cmp_eq_u16_e32 vcc, s0, v5
	s_mov_b64 s[0:1], -1
                                        ; implicit-def: $sgpr12
	s_and_saveexec_b64 s[10:11], vcc
; %bb.638:
	s_mov_b32 s12, 0x7f800001
	s_xor_b64 s[0:1], exec, -1
; %bb.639:
	s_or_b64 exec, exec, s[10:11]
	s_and_b64 s[0:1], s[0:1], exec
	s_or_saveexec_b64 s[8:9], s[8:9]
	v_mov_b32_e32 v1, s12
	s_xor_b64 exec, exec, s[8:9]
	s_cbranch_execnz .LBB21_660
.LBB21_640:
	s_or_b64 exec, exec, s[8:9]
	s_and_saveexec_b64 s[8:9], s[0:1]
	s_cbranch_execz .LBB21_642
.LBB21_641:
	v_lshlrev_b32_e32 v1, 24, v5
	v_and_b32_e32 v5, 0xffff, v5
	v_and_b32_e32 v7, 3, v5
	v_ffbh_u32_e32 v9, v7
	v_min_u32_e32 v9, 32, v9
	v_subrev_u32_e32 v10, 29, v9
	v_bfe_u32 v8, v5, 2, 5
	v_lshlrev_b32_e32 v5, v10, v5
	v_sub_u32_e32 v9, 30, v9
	v_and_b32_e32 v5, 3, v5
	v_cmp_eq_u32_e32 vcc, 0, v8
	v_cndmask_b32_e32 v8, v8, v9, vcc
	v_cndmask_b32_e32 v5, v7, v5, vcc
	v_mov_b32_e32 v7, 0x37800000
	v_lshlrev_b32_e32 v5, 21, v5
	v_and_b32_e32 v1, 0x80000000, v1
	v_lshl_add_u32 v7, v8, 23, v7
	v_or3_b32 v1, v1, v7, v5
.LBB21_642:
	s_or_b64 exec, exec, s[8:9]
	s_mov_b64 s[0:1], 0
	s_branch .LBB21_648
.LBB21_643:
	s_mov_b64 s[8:9], -1
                                        ; implicit-def: $vgpr1
	s_branch .LBB21_654
.LBB21_644:
	s_or_saveexec_b64 s[8:9], s[8:9]
	v_mov_b32_e32 v1, s12
	s_xor_b64 exec, exec, s[8:9]
	s_cbranch_execz .LBB21_627
.LBB21_645:
	v_cmp_ne_u16_e32 vcc, 0, v5
	s_andn2_b64 s[0:1], s[0:1], exec
	s_and_b64 s[10:11], vcc, exec
	v_mov_b32_e32 v1, 0
	s_or_b64 s[0:1], s[0:1], s[10:11]
	s_or_b64 exec, exec, s[8:9]
	s_and_saveexec_b64 s[8:9], s[0:1]
	s_cbranch_execnz .LBB21_628
	s_branch .LBB21_629
.LBB21_646:
	s_mov_b64 s[0:1], -1
                                        ; implicit-def: $vgpr1
	s_branch .LBB21_651
.LBB21_647:
	s_mov_b64 s[0:1], -1
                                        ; implicit-def: $vgpr1
.LBB21_648:
	s_and_b64 vcc, exec, s[0:1]
	s_cbranch_vccz .LBB21_650
; %bb.649:
	global_load_ubyte v1, v[2:3], off
	s_mov_b32 s0, 0x7f800000
	s_waitcnt vmcnt(0)
	v_lshlrev_b32_e32 v1, 24, v1
	v_and_b32_e32 v5, 0x7f000000, v1
	v_ffbh_u32_e32 v7, v5
	v_min_u32_e32 v7, 32, v7
	v_sub_u32_e64 v7, v7, 4 clamp
	v_lshlrev_b32_e32 v9, v7, v5
	v_lshlrev_b32_e32 v7, 23, v7
	v_lshrrev_b32_e32 v9, 4, v9
	v_add_u32_e32 v8, 0x1000000, v5
	v_sub_u32_e32 v7, v9, v7
	v_ashrrev_i32_e32 v8, 8, v8
	v_add_u32_e32 v7, 0x3c000000, v7
	v_and_or_b32 v7, v8, s0, v7
	v_cmp_ne_u32_e32 vcc, 0, v5
	v_cndmask_b32_e32 v5, 0, v7, vcc
	s_brev_b32 s0, 1
	v_and_or_b32 v1, v1, s0, v5
.LBB21_650:
	s_mov_b64 s[0:1], 0
.LBB21_651:
	s_andn2_b64 vcc, exec, s[0:1]
	s_cbranch_vccnz .LBB21_653
; %bb.652:
	global_load_ubyte v1, v[2:3], off
	s_movk_i32 s0, 0x7f00
	s_brev_b32 s1, 16
	s_waitcnt vmcnt(0)
	v_lshlrev_b16_e32 v5, 8, v1
	v_lshlrev_b32_e32 v1, 25, v1
	v_lshrrev_b32_e32 v7, 4, v1
	v_and_or_b32 v8, v5, s0, 0.5
	v_or_b32_e32 v7, 0x70000000, v7
	v_add_f32_e32 v8, -0.5, v8
	v_mul_f32_e32 v7, 0x7800000, v7
	v_cmp_gt_u32_e32 vcc, s1, v1
	v_bfe_i32 v5, v5, 0, 16
	v_cndmask_b32_e32 v1, v7, v8, vcc
	s_brev_b32 s0, 1
	v_and_or_b32 v1, v5, s0, v1
.LBB21_653:
	s_mov_b64 s[8:9], 0
	s_mov_b64 s[0:1], -1
.LBB21_654:
	s_andn2_b64 vcc, exec, s[8:9]
	s_cbranch_vccnz .LBB21_667
; %bb.655:
	v_cmp_lt_i16_e32 vcc, 14, v4
	s_cbranch_vccz .LBB21_658
; %bb.656:
	v_cmp_eq_u16_e32 vcc, 15, v4
	s_cbranch_vccz .LBB21_661
; %bb.657:
	global_load_ushort v1, v[2:3], off
	s_mov_b64 s[0:1], -1
	s_mov_b64 s[2:3], 0
	s_waitcnt vmcnt(0)
	v_lshlrev_b32_e32 v1, 16, v1
	s_branch .LBB21_662
.LBB21_658:
	s_mov_b64 s[8:9], -1
                                        ; implicit-def: $vgpr1
	s_branch .LBB21_663
.LBB21_659:
	s_or_saveexec_b64 s[8:9], s[8:9]
	v_mov_b32_e32 v1, s12
	s_xor_b64 exec, exec, s[8:9]
	s_cbranch_execz .LBB21_640
.LBB21_660:
	v_cmp_ne_u16_e32 vcc, 0, v5
	s_andn2_b64 s[0:1], s[0:1], exec
	s_and_b64 s[10:11], vcc, exec
	v_mov_b32_e32 v1, 0
	s_or_b64 s[0:1], s[0:1], s[10:11]
	s_or_b64 exec, exec, s[8:9]
	s_and_saveexec_b64 s[8:9], s[0:1]
	s_cbranch_execnz .LBB21_641
	s_branch .LBB21_642
.LBB21_661:
	s_mov_b64 s[2:3], -1
                                        ; implicit-def: $vgpr1
.LBB21_662:
	s_mov_b64 s[8:9], 0
.LBB21_663:
	s_and_b64 vcc, exec, s[8:9]
	s_cbranch_vccz .LBB21_667
; %bb.664:
	v_cmp_eq_u16_e32 vcc, 11, v4
	s_cbranch_vccz .LBB21_666
; %bb.665:
	global_load_ubyte v1, v[2:3], off
	s_mov_b64 s[0:1], -1
	s_mov_b64 s[2:3], 0
	s_waitcnt vmcnt(0)
	v_cmp_ne_u16_e32 vcc, 0, v1
	v_cndmask_b32_e64 v1, 0, 1.0, vcc
	s_branch .LBB21_667
.LBB21_666:
	s_mov_b64 s[2:3], -1
                                        ; implicit-def: $vgpr1
.LBB21_667:
	s_mov_b64 s[8:9], 0
.LBB21_668:
	s_and_b64 vcc, exec, s[8:9]
	s_cbranch_vccz .LBB21_717
; %bb.669:
	v_cmp_gt_i16_e32 vcc, 5, v4
	s_cbranch_vccnz .LBB21_674
; %bb.670:
	v_cmp_gt_i16_e32 vcc, 8, v4
	s_cbranch_vccnz .LBB21_675
	;; [unrolled: 3-line block ×3, first 2 shown]
; %bb.672:
	v_cmp_lt_i16_e32 vcc, 9, v4
	s_cbranch_vccz .LBB21_677
; %bb.673:
	global_load_dwordx2 v[8:9], v[2:3], off
	s_mov_b64 s[0:1], 0
	s_waitcnt vmcnt(0)
	v_cvt_f32_f64_e32 v1, v[8:9]
	s_branch .LBB21_678
.LBB21_674:
	s_mov_b64 s[0:1], -1
                                        ; implicit-def: $vgpr1
	s_branch .LBB21_696
.LBB21_675:
	s_mov_b64 s[0:1], -1
                                        ; implicit-def: $vgpr1
	s_branch .LBB21_684
.LBB21_676:
	s_mov_b64 s[0:1], -1
                                        ; implicit-def: $vgpr1
	s_branch .LBB21_681
.LBB21_677:
	s_mov_b64 s[0:1], -1
                                        ; implicit-def: $vgpr1
.LBB21_678:
	s_andn2_b64 vcc, exec, s[0:1]
	s_cbranch_vccnz .LBB21_680
; %bb.679:
	global_load_dword v1, v[2:3], off
.LBB21_680:
	s_mov_b64 s[0:1], 0
.LBB21_681:
	s_andn2_b64 vcc, exec, s[0:1]
	s_cbranch_vccnz .LBB21_683
; %bb.682:
	global_load_dword v1, v[2:3], off
	s_waitcnt vmcnt(0)
	v_cvt_f32_f16_e32 v1, v1
.LBB21_683:
	s_mov_b64 s[0:1], 0
.LBB21_684:
	s_andn2_b64 vcc, exec, s[0:1]
	s_cbranch_vccnz .LBB21_695
; %bb.685:
	v_cmp_gt_i16_e32 vcc, 6, v4
	s_cbranch_vccnz .LBB21_688
; %bb.686:
	v_cmp_lt_i16_e32 vcc, 6, v4
	s_cbranch_vccz .LBB21_689
; %bb.687:
	global_load_dwordx2 v[8:9], v[2:3], off
	s_mov_b64 s[0:1], 0
	s_waitcnt vmcnt(0)
	v_cvt_f32_f64_e32 v1, v[8:9]
	s_branch .LBB21_690
.LBB21_688:
	s_mov_b64 s[0:1], -1
                                        ; implicit-def: $vgpr1
	s_branch .LBB21_693
.LBB21_689:
	s_mov_b64 s[0:1], -1
                                        ; implicit-def: $vgpr1
.LBB21_690:
	s_andn2_b64 vcc, exec, s[0:1]
	s_cbranch_vccnz .LBB21_692
; %bb.691:
	global_load_dword v1, v[2:3], off
.LBB21_692:
	s_mov_b64 s[0:1], 0
.LBB21_693:
	s_andn2_b64 vcc, exec, s[0:1]
	s_cbranch_vccnz .LBB21_695
; %bb.694:
	global_load_ushort v1, v[2:3], off
	s_waitcnt vmcnt(0)
	v_cvt_f32_f16_e32 v1, v1
.LBB21_695:
	s_mov_b64 s[0:1], 0
.LBB21_696:
	s_andn2_b64 vcc, exec, s[0:1]
	s_cbranch_vccnz .LBB21_716
; %bb.697:
	v_cmp_gt_i16_e32 vcc, 2, v4
	s_cbranch_vccnz .LBB21_701
; %bb.698:
	v_cmp_gt_i16_e32 vcc, 3, v4
	s_cbranch_vccnz .LBB21_702
; %bb.699:
	v_cmp_lt_i16_e32 vcc, 3, v4
	s_cbranch_vccz .LBB21_703
; %bb.700:
	global_load_dwordx2 v[8:9], v[2:3], off
	s_mov_b64 s[0:1], 0
	s_waitcnt vmcnt(0)
	v_xor_b32_e32 v5, v8, v9
	v_ffbh_i32_e32 v1, v9
	v_ashrrev_i32_e32 v5, 31, v5
	v_add_u32_e32 v1, -1, v1
	v_add_u32_e32 v5, 32, v5
	v_min_u32_e32 v1, v1, v5
	v_lshlrev_b64 v[8:9], v1, v[8:9]
	v_min_u32_e32 v5, 1, v8
	v_or_b32_e32 v5, v9, v5
	v_cvt_f32_i32_e32 v5, v5
	v_sub_u32_e32 v1, 32, v1
	v_ldexp_f32 v1, v5, v1
	s_branch .LBB21_704
.LBB21_701:
	s_mov_b64 s[0:1], -1
                                        ; implicit-def: $vgpr1
	s_branch .LBB21_710
.LBB21_702:
	s_mov_b64 s[0:1], -1
                                        ; implicit-def: $vgpr1
	s_branch .LBB21_707
.LBB21_703:
	s_mov_b64 s[0:1], -1
                                        ; implicit-def: $vgpr1
.LBB21_704:
	s_andn2_b64 vcc, exec, s[0:1]
	s_cbranch_vccnz .LBB21_706
; %bb.705:
	global_load_dword v1, v[2:3], off
	s_waitcnt vmcnt(0)
	v_cvt_f32_i32_e32 v1, v1
.LBB21_706:
	s_mov_b64 s[0:1], 0
.LBB21_707:
	s_andn2_b64 vcc, exec, s[0:1]
	s_cbranch_vccnz .LBB21_709
; %bb.708:
	global_load_sshort v1, v[2:3], off
	s_waitcnt vmcnt(0)
	v_cvt_f32_i32_e32 v1, v1
.LBB21_709:
	s_mov_b64 s[0:1], 0
.LBB21_710:
	s_andn2_b64 vcc, exec, s[0:1]
	s_cbranch_vccnz .LBB21_716
; %bb.711:
	v_cmp_lt_i16_e32 vcc, 0, v4
	s_cbranch_vccz .LBB21_713
; %bb.712:
	global_load_sbyte v1, v[2:3], off
	s_mov_b64 s[0:1], 0
	s_waitcnt vmcnt(0)
	v_cvt_f32_i32_e32 v1, v1
	s_branch .LBB21_714
.LBB21_713:
	s_mov_b64 s[0:1], -1
                                        ; implicit-def: $vgpr1
.LBB21_714:
	s_andn2_b64 vcc, exec, s[0:1]
	s_cbranch_vccnz .LBB21_716
; %bb.715:
	global_load_ubyte v1, v[2:3], off
	s_waitcnt vmcnt(0)
	v_cvt_f32_ubyte0_e32 v1, v1
.LBB21_716:
	s_mov_b64 s[0:1], -1
.LBB21_717:
	s_andn2_b64 vcc, exec, s[0:1]
	s_cbranch_vccnz .LBB21_737
; %bb.718:
	s_waitcnt vmcnt(0)
	v_cmp_neq_f32_e32 vcc, 0, v1
	v_mov_b32_e32 v2, 0x7f800000
	s_and_saveexec_b64 s[8:9], vcc
	s_cbranch_execz .LBB21_730
; %bb.719:
	v_cmp_ngt_f32_e32 vcc, 0, v1
	v_mov_b32_e32 v2, 0x7fc00000
	s_and_saveexec_b64 s[10:11], vcc
	s_cbranch_execz .LBB21_729
; %bb.720:
	v_cmp_ge_f32_e32 vcc, 2.0, v1
                                        ; implicit-def: $vgpr2
	s_and_saveexec_b64 s[0:1], vcc
	s_xor_b64 s[12:13], exec, s[0:1]
	s_cbranch_execz .LBB21_726
; %bb.721:
	s_mov_b32 s0, 0x41000000
	v_mul_f32_e32 v2, 0.5, v1
	v_cmp_ge_f32_e32 vcc, s0, v1
                                        ; implicit-def: $vgpr5
                                        ; implicit-def: $vgpr3
	s_and_saveexec_b64 s[0:1], vcc
	s_xor_b64 s[0:1], exec, s[0:1]
	s_cbranch_execz .LBB21_723
; %bb.722:
	v_add_f32_e32 v3, -2.0, v2
	v_mov_b32_e32 v5, 0x24199b15
	v_fmac_f32_e32 v5, 0xa2a2e5b9, v3
	v_mov_b32_e32 v7, 0x22a2e5b9
	v_fmac_f32_e32 v7, v3, v5
	v_add_f32_e32 v7, 0xa58c275c, v7
	v_fma_f32 v5, v3, v7, -v5
	v_add_f32_e32 v5, 0x26f736c5, v5
	v_fma_f32 v7, v3, v5, -v7
	;; [unrolled: 2-line block ×23, first 2 shown]
	v_mul_f32_e32 v8, 0x3fb8aa3b, v1
	v_add_f32_e32 v5, 0x3d49f456, v5
	s_mov_b32 s14, 0x3fb8aa3b
	v_rndne_f32_e32 v9, v8
	v_fma_f32 v7, v3, v5, -v7
	v_sub_f32_e32 v10, v8, v9
	v_fma_f32 v8, v1, s14, -v8
	v_add_f32_e32 v7, 0xbdc25b82, v7
	v_fmac_f32_e32 v8, 0x32a5705f, v1
	v_fma_f32 v5, v3, v7, -v5
	v_add_f32_e32 v8, v10, v8
	v_add_f32_e32 v5, 0x3e2fbd64, v5
	v_exp_f32_e32 v8, v8
	v_cvt_i32_f32_e32 v9, v9
	v_fma_f32 v7, v3, v5, -v7
	v_add_f32_e32 v7, 0xbe9bff5e, v7
	v_fma_f32 v3, v3, v7, -v5
	s_mov_b32 s14, 0xc2ce8ed0
	v_add_f32_e32 v7, 0x3f2d4275, v3
	v_ldexp_f32 v3, v8, v9
	v_cmp_ngt_f32_e32 vcc, s14, v1
	s_mov_b32 s14, 0x42b17218
	v_cndmask_b32_e32 v3, 0, v3, vcc
	v_mov_b32_e32 v8, 0x7f800000
	v_cmp_nlt_f32_e32 vcc, s14, v1
	v_sub_f32_e32 v5, v7, v5
	v_cndmask_b32_e32 v3, v8, v3, vcc
	v_mul_f32_e32 v5, 0.5, v5
	v_mul_f32_e32 v5, v3, v5
.LBB21_723:
	s_andn2_saveexec_b64 s[14:15], s[0:1]
	s_cbranch_execz .LBB21_725
; %bb.724:
	s_mov_b32 s16, 0x42000000
	v_div_scale_f32 v3, s[0:1], v1, v1, s16
	v_rcp_f32_e32 v5, v3
	v_div_scale_f32 v7, vcc, s16, v1, s16
	s_mov_b32 s0, 0x3fb8aa3b
	v_fma_f32 v8, -v3, v5, 1.0
	v_fmac_f32_e32 v5, v8, v5
	v_mul_f32_e32 v8, v7, v5
	v_fma_f32 v9, -v3, v8, v7
	v_fmac_f32_e32 v8, v9, v5
	v_fma_f32 v3, -v3, v8, v7
	v_div_fmas_f32 v3, v3, v5, v8
	v_div_fixup_f32 v3, v3, v1, s16
	v_add_f32_e32 v3, -2.0, v3
	v_mov_b32_e32 v5, 0xa2b236d3
	v_fmac_f32_e32 v5, 0xa3056dbb, v3
	v_mov_b32_e32 v7, 0x23056dbb
	v_fmac_f32_e32 v7, v3, v5
	v_add_f32_e32 v7, 0x244df0c1, v7
	v_fma_f32 v5, v3, v7, -v5
	v_add_f32_e32 v5, 0x241f9ee8, v5
	v_fma_f32 v7, v3, v5, -v7
	;; [unrolled: 2-line block ×18, first 2 shown]
	v_mul_f32_e32 v8, 0x3fb8aa3b, v1
	v_add_f32_e32 v7, 0x345c003f, v7
	v_rndne_f32_e32 v9, v8
	v_fma_f32 v5, v3, v7, -v5
	v_sub_f32_e32 v10, v8, v9
	v_fma_f32 v8, v1, s0, -v8
	v_add_f32_e32 v5, 0x3642095e, v5
	v_fmac_f32_e32 v8, 0x32a5705f, v1
	v_fma_f32 v7, v3, v5, -v7
	v_add_f32_e32 v8, v10, v8
	v_add_f32_e32 v7, 0x38907d1c, v7
	v_exp_f32_e32 v8, v8
	v_cvt_i32_f32_e32 v9, v9
	v_fma_f32 v5, v3, v7, -v5
	v_add_f32_e32 v5, 0x3b5ccc65, v5
	v_fma_f32 v3, v3, v5, -v7
	s_mov_b32 s0, 0xc2ce8ed0
	v_add_f32_e32 v5, 0x3f4df315, v3
	v_ldexp_f32 v3, v8, v9
	v_cmp_ngt_f32_e32 vcc, s0, v1
	s_mov_b32 s0, 0x42b17218
	v_cndmask_b32_e32 v3, 0, v3, vcc
	v_mov_b32_e32 v8, 0x7f800000
	v_cmp_nlt_f32_e32 vcc, s0, v1
	s_mov_b32 s0, 0xf800000
	v_cndmask_b32_e32 v3, v8, v3, vcc
	v_mul_f32_e32 v8, 0x4f800000, v1
	v_cmp_gt_f32_e32 vcc, s0, v1
	v_cndmask_b32_e32 v8, v1, v8, vcc
	v_sqrt_f32_e32 v9, v8
	v_sub_f32_e32 v5, v5, v7
	v_mul_f32_e32 v5, 0.5, v5
	v_mul_f32_e32 v5, v3, v5
	v_add_u32_e32 v7, -1, v9
	v_fma_f32 v10, -v7, v9, v8
	v_cmp_ge_f32_e64 s[0:1], 0, v10
	v_add_u32_e32 v10, 1, v9
	v_cndmask_b32_e64 v7, v9, v7, s[0:1]
	v_fma_f32 v9, -v10, v9, v8
	v_cmp_lt_f32_e64 s[0:1], 0, v9
	v_cndmask_b32_e64 v7, v7, v10, s[0:1]
	v_mul_f32_e32 v9, 0x37800000, v7
	v_cndmask_b32_e32 v7, v7, v9, vcc
	v_mov_b32_e32 v9, 0x260
	v_cmp_class_f32_e32 vcc, v8, v9
	v_cndmask_b32_e32 v7, v7, v8, vcc
	v_div_scale_f32 v8, s[0:1], v7, v7, v5
	v_rcp_f32_e32 v9, v8
	v_fma_f32 v10, -v8, v9, 1.0
	v_fmac_f32_e32 v9, v10, v9
	v_div_scale_f32 v10, vcc, v5, v7, v5
	v_mul_f32_e32 v11, v10, v9
	v_fma_f32 v12, -v8, v11, v10
	v_fmac_f32_e32 v11, v12, v9
	v_fma_f32 v8, -v8, v11, v10
	v_div_fmas_f32 v8, v8, v9, v11
	v_div_fixup_f32 v5, v8, v7, v5
.LBB21_725:
	s_or_b64 exec, exec, s[14:15]
	v_fma_f32 v1, v1, v1, -2.0
	v_mov_b32_e32 v7, 0x293fd856
	v_fmac_f32_e32 v7, 0x251e770f, v1
	v_mov_b32_e32 v8, 0xa51e770f
	v_fmac_f32_e32 v8, v1, v7
	v_add_f32_e32 v8, 0x2d3612e2, v8
	v_fma_f32 v7, v1, v8, -v7
	v_add_f32_e32 v7, 0x3102e09b, v7
	v_fma_f32 v8, v1, v7, -v8
	;; [unrolled: 2-line block ×6, first 2 shown]
	v_add_f32_e32 v8, 0x3eb046c4, v8
	s_mov_b32 s0, 0x800000
	v_fma_f32 v1, v1, v8, -v7
	v_mov_b32_e32 v8, 0x4f800000
	v_cmp_gt_f32_e32 vcc, s0, v2
	v_cndmask_b32_e32 v8, 1.0, v8, vcc
	v_mul_f32_e32 v2, v2, v8
	v_log_f32_e32 v2, v2
	v_add_f32_e32 v1, 0xbf090b37, v1
	v_sub_f32_e32 v1, v1, v7
	s_mov_b32 s0, 0x3f317217
	v_mul_f32_e32 v7, 0x3f317217, v2
	v_fma_f32 v8, v2, s0, -v7
	v_fmac_f32_e32 v8, 0x3377d1cf, v2
	s_mov_b32 s0, 0x7f800000
	v_add_f32_e32 v7, v7, v8
	v_cmp_lt_f32_e64 s[0:1], |v2|, s0
	v_cndmask_b32_e64 v2, v2, v7, s[0:1]
	v_mov_b32_e32 v7, 0x41b17218
	v_cndmask_b32_e32 v7, 0, v7, vcc
	v_sub_f32_e32 v2, v2, v7
	v_mul_f32_e32 v2, v2, v5
	v_fma_f32 v1, v1, 0.5, -v2
	v_mul_f32_e32 v2, v3, v1
                                        ; implicit-def: $vgpr1
.LBB21_726:
	s_andn2_saveexec_b64 s[12:13], s[12:13]
	s_cbranch_execz .LBB21_728
; %bb.727:
	s_mov_b32 s14, 0x41000000
	v_div_scale_f32 v2, s[0:1], v1, v1, s14
	v_rcp_f32_e32 v3, v2
	v_div_scale_f32 v5, vcc, s14, v1, s14
	s_mov_b32 s0, 0xf800000
	v_fma_f32 v7, -v2, v3, 1.0
	v_fmac_f32_e32 v3, v7, v3
	v_mul_f32_e32 v7, v5, v3
	v_fma_f32 v8, -v2, v7, v5
	v_fmac_f32_e32 v7, v8, v3
	v_fma_f32 v2, -v2, v7, v5
	v_div_fmas_f32 v2, v2, v3, v7
	v_div_fixup_f32 v2, v2, v1, s14
	v_add_f32_e32 v2, -2.0, v2
	v_mov_b32_e32 v3, 0xa397f665
	v_fmac_f32_e32 v3, 0x22c38d2e, v2
	v_mov_b32_e32 v5, 0xa2c38d2e
	v_fmac_f32_e32 v5, v2, v3
	v_add_f32_e32 v5, 0x24704972, v5
	v_fma_f32 v3, v2, v5, -v3
	v_add_f32_e32 v3, 0xa5417ca4, v3
	v_fma_f32 v5, v2, v3, -v5
	;; [unrolled: 2-line block ×22, first 2 shown]
	v_mul_f32_e32 v3, 0x4f800000, v1
	v_cmp_gt_f32_e32 vcc, s0, v1
	v_cndmask_b32_e32 v1, v1, v3, vcc
	v_sqrt_f32_e32 v3, v1
	v_add_f32_e32 v2, 0x401c2ded, v2
	v_sub_f32_e32 v2, v2, v5
	v_mul_f32_e32 v2, 0.5, v2
	v_add_u32_e32 v5, -1, v3
	v_fma_f32 v7, -v5, v3, v1
	v_cmp_ge_f32_e64 s[0:1], 0, v7
	v_add_u32_e32 v7, 1, v3
	v_cndmask_b32_e64 v5, v3, v5, s[0:1]
	v_fma_f32 v3, -v7, v3, v1
	v_cmp_lt_f32_e64 s[0:1], 0, v3
	v_cndmask_b32_e64 v3, v5, v7, s[0:1]
	v_mul_f32_e32 v5, 0x37800000, v3
	v_cndmask_b32_e32 v3, v3, v5, vcc
	v_mov_b32_e32 v5, 0x260
	v_cmp_class_f32_e32 vcc, v1, v5
	v_cndmask_b32_e32 v1, v3, v1, vcc
	v_div_scale_f32 v3, s[0:1], v1, v1, v2
	v_rcp_f32_e32 v5, v3
	v_fma_f32 v7, -v3, v5, 1.0
	v_fmac_f32_e32 v5, v7, v5
	v_div_scale_f32 v7, vcc, v2, v1, v2
	v_mul_f32_e32 v8, v7, v5
	v_fma_f32 v9, -v3, v8, v7
	v_fmac_f32_e32 v8, v9, v5
	v_fma_f32 v3, -v3, v8, v7
	v_div_fmas_f32 v3, v3, v5, v8
	v_div_fixup_f32 v2, v3, v1, v2
.LBB21_728:
	s_or_b64 exec, exec, s[12:13]
.LBB21_729:
	s_or_b64 exec, exec, s[10:11]
.LBB21_730:
	s_or_b64 exec, exec, s[8:9]
	v_mov_b32_e32 v1, s25
	v_add_co_u32_e32 v0, vcc, s24, v0
	v_mov_b32_e32 v3, 11
	v_addc_co_u32_e32 v1, vcc, 0, v1, vcc
	v_cmp_lt_i16_sdwa s[0:1], v6, v3 src0_sel:BYTE_0 src1_sel:DWORD
	s_and_b64 vcc, exec, s[0:1]
	s_cbranch_vccnz .LBB21_738
; %bb.731:
	v_mov_b32_e32 v3, 25
	v_cmp_gt_i16_sdwa s[0:1], v6, v3 src0_sel:BYTE_0 src1_sel:DWORD
	s_and_b64 vcc, exec, s[0:1]
	s_cbranch_vccz .LBB21_739
; %bb.732:
	v_mov_b32_e32 v3, 28
	v_cmp_gt_i16_sdwa s[0:1], v6, v3 src0_sel:BYTE_0 src1_sel:DWORD
	s_and_b64 vcc, exec, s[0:1]
	s_cbranch_vccz .LBB21_740
; %bb.733:
	v_mov_b32_e32 v3, 43
	v_cmp_gt_i16_sdwa s[0:1], v6, v3 src0_sel:BYTE_0 src1_sel:DWORD
	s_and_b64 vcc, exec, s[0:1]
	s_cbranch_vccz .LBB21_741
; %bb.734:
	v_mov_b32_e32 v3, 45
	v_cmp_gt_i16_sdwa s[0:1], v6, v3 src0_sel:BYTE_0 src1_sel:DWORD
	s_and_b64 vcc, exec, s[0:1]
	s_cbranch_vccz .LBB21_742
; %bb.735:
	v_mov_b32_e32 v3, 46
	v_cmp_eq_u16_sdwa s[8:9], v6, v3 src0_sel:BYTE_0 src1_sel:DWORD
	s_mov_b64 s[10:11], 0
	s_mov_b64 s[0:1], -1
	s_and_b64 vcc, exec, s[8:9]
	s_mov_b64 s[8:9], 0
	s_cbranch_vccz .LBB21_743
; %bb.736:
	v_bfe_u32 v3, v2, 16, 1
	s_movk_i32 s0, 0x7fff
	v_add3_u32 v3, v2, v3, s0
	v_lshrrev_b32_e32 v3, 16, v3
	v_mov_b32_e32 v5, 0x7fc0
	v_cmp_o_f32_e32 vcc, v2, v2
	v_cndmask_b32_e32 v3, v5, v3, vcc
	global_store_dword v[0:1], v3, off
	s_mov_b64 s[8:9], -1
	s_mov_b64 s[0:1], 0
	s_branch .LBB21_743
.LBB21_737:
	s_mov_b64 s[8:9], 0
	s_mov_b64 s[0:1], s[60:61]
	s_branch .LBB21_854
.LBB21_738:
	s_mov_b64 s[10:11], -1
	s_mov_b64 s[8:9], 0
	s_mov_b64 s[0:1], s[60:61]
	s_branch .LBB21_812
.LBB21_739:
	s_mov_b64 s[10:11], -1
	s_mov_b64 s[8:9], 0
	s_mov_b64 s[0:1], s[60:61]
	s_branch .LBB21_770
.LBB21_740:
	s_mov_b64 s[10:11], -1
	s_mov_b64 s[8:9], 0
	s_mov_b64 s[0:1], s[60:61]
	s_branch .LBB21_753
.LBB21_741:
	s_mov_b64 s[10:11], -1
	s_mov_b64 s[8:9], 0
	s_mov_b64 s[0:1], s[60:61]
	s_branch .LBB21_749
.LBB21_742:
	s_mov_b64 s[10:11], -1
	s_mov_b64 s[8:9], 0
	s_mov_b64 s[0:1], s[60:61]
.LBB21_743:
	s_and_b64 vcc, exec, s[10:11]
	s_cbranch_vccz .LBB21_748
; %bb.744:
	v_mov_b32_e32 v3, 44
	v_cmp_eq_u16_sdwa s[10:11], v6, v3 src0_sel:BYTE_0 src1_sel:DWORD
	s_mov_b64 s[0:1], -1
	s_and_b64 vcc, exec, s[10:11]
	s_cbranch_vccz .LBB21_748
; %bb.745:
	v_bfe_u32 v3, v2, 23, 8
	s_movk_i32 s0, 0xff
	v_cmp_ne_u32_e32 vcc, s0, v3
	v_mov_b32_e32 v5, 0xff
	s_and_saveexec_b64 s[8:9], vcc
; %bb.746:
	s_mov_b32 s0, 0x3fffff
	v_and_b32_e32 v7, 0x400000, v2
	v_and_or_b32 v3, v2, s0, v3
	v_cmp_ne_u32_e32 vcc, 0, v7
	v_cmp_ne_u32_e64 s[0:1], 0, v3
	s_and_b64 s[0:1], vcc, s[0:1]
	v_lshrrev_b32_e32 v5, 23, v2
	v_cndmask_b32_e64 v3, 0, 1, s[0:1]
	v_add_u32_e32 v5, v5, v3
; %bb.747:
	s_or_b64 exec, exec, s[8:9]
	s_mov_b64 s[8:9], -1
	s_mov_b64 s[0:1], 0
	global_store_byte v[0:1], v5, off
.LBB21_748:
	s_mov_b64 s[10:11], 0
.LBB21_749:
	s_and_b64 vcc, exec, s[10:11]
	s_cbranch_vccz .LBB21_752
; %bb.750:
	v_mov_b32_e32 v3, 29
	v_cmp_eq_u16_sdwa s[10:11], v6, v3 src0_sel:BYTE_0 src1_sel:DWORD
	s_mov_b64 s[0:1], -1
	s_and_b64 vcc, exec, s[10:11]
	s_cbranch_vccz .LBB21_752
; %bb.751:
	v_trunc_f32_e32 v3, v2
	v_mul_f32_e32 v5, 0x2f800000, v3
	v_floor_f32_e32 v5, v5
	v_fmac_f32_e32 v3, 0xcf800000, v5
	v_cvt_u32_f32_e32 v9, v5
	v_cvt_u32_f32_e32 v8, v3
	s_mov_b64 s[8:9], -1
	s_mov_b64 s[0:1], 0
	s_mov_b64 s[10:11], 0
	global_store_dwordx2 v[0:1], v[8:9], off
	s_branch .LBB21_753
.LBB21_752:
	s_mov_b64 s[10:11], 0
.LBB21_753:
	s_and_b64 vcc, exec, s[10:11]
	s_cbranch_vccz .LBB21_769
; %bb.754:
	v_mov_b32_e32 v3, 27
	v_cmp_lt_i16_sdwa s[10:11], v6, v3 src0_sel:BYTE_0 src1_sel:DWORD
	s_mov_b64 s[8:9], -1
	s_and_b64 vcc, exec, s[10:11]
	s_cbranch_vccnz .LBB21_760
; %bb.755:
	v_cmp_gt_i16_sdwa s[10:11], v6, v3 src0_sel:BYTE_0 src1_sel:DWORD
	v_cvt_u32_f32_e32 v3, v2
	s_and_b64 vcc, exec, s[10:11]
	s_cbranch_vccz .LBB21_757
; %bb.756:
	s_mov_b64 s[8:9], 0
	global_store_dword v[0:1], v3, off
.LBB21_757:
	s_andn2_b64 vcc, exec, s[8:9]
	s_cbranch_vccnz .LBB21_759
; %bb.758:
	global_store_short v[0:1], v3, off
.LBB21_759:
	s_mov_b64 s[8:9], 0
.LBB21_760:
	s_andn2_b64 vcc, exec, s[8:9]
	s_cbranch_vccnz .LBB21_768
; %bb.761:
	v_and_b32_e32 v3, 0x7fffffff, v2
	s_mov_b32 s8, 0x43800000
	v_cmp_gt_u32_e32 vcc, s8, v3
	v_mov_b32_e32 v5, 0x80
	s_and_saveexec_b64 s[8:9], vcc
	s_cbranch_execz .LBB21_767
; %bb.762:
	s_mov_b32 s10, 0x3bffffff
	v_cmp_lt_u32_e32 vcc, s10, v3
	s_mov_b64 s[10:11], 0
                                        ; implicit-def: $vgpr3
	s_and_saveexec_b64 s[12:13], vcc
	s_xor_b64 s[12:13], exec, s[12:13]
	s_cbranch_execz .LBB21_885
; %bb.763:
	v_bfe_u32 v3, v2, 20, 1
	s_mov_b32 s14, 0x487ffff
	v_add3_u32 v3, v2, v3, s14
	s_mov_b64 s[10:11], exec
	v_lshrrev_b32_e32 v3, 20, v3
	s_or_saveexec_b64 s[12:13], s[12:13]
                                        ; implicit-def: $sgpr14
	s_xor_b64 exec, exec, s[12:13]
	s_cbranch_execnz .LBB21_886
.LBB21_764:
	s_or_b64 exec, exec, s[12:13]
	v_mov_b32_e32 v5, s14
	s_and_saveexec_b64 s[12:13], s[10:11]
.LBB21_765:
	v_lshrrev_b32_e32 v5, 24, v2
	s_movk_i32 s10, 0x80
	v_and_or_b32 v5, v5, s10, v3
.LBB21_766:
	s_or_b64 exec, exec, s[12:13]
.LBB21_767:
	s_or_b64 exec, exec, s[8:9]
	global_store_byte v[0:1], v5, off
.LBB21_768:
	s_mov_b64 s[8:9], -1
.LBB21_769:
	s_mov_b64 s[10:11], 0
.LBB21_770:
	s_and_b64 vcc, exec, s[10:11]
	s_cbranch_vccz .LBB21_811
; %bb.771:
	v_mov_b32_e32 v3, 22
	v_cmp_gt_i16_sdwa s[12:13], v6, v3 src0_sel:BYTE_0 src1_sel:DWORD
	s_mov_b64 s[10:11], -1
	s_and_b64 vcc, exec, s[12:13]
	s_cbranch_vccz .LBB21_803
; %bb.772:
	v_mov_b32_e32 v3, 24
	v_cmp_lt_i16_sdwa s[10:11], v6, v3 src0_sel:BYTE_0 src1_sel:DWORD
	s_mov_b64 s[8:9], -1
	s_and_b64 vcc, exec, s[10:11]
	s_cbranch_vccnz .LBB21_792
; %bb.773:
	v_cmp_gt_i16_sdwa s[10:11], v6, v3 src0_sel:BYTE_0 src1_sel:DWORD
	s_and_b64 vcc, exec, s[10:11]
	s_cbranch_vccz .LBB21_781
; %bb.774:
	v_and_b32_e32 v3, 0x7fffffff, v2
	s_mov_b32 s8, 0x47800000
	v_cmp_gt_u32_e32 vcc, s8, v3
	v_mov_b32_e32 v5, 0x80
	s_and_saveexec_b64 s[8:9], vcc
	s_cbranch_execz .LBB21_780
; %bb.775:
	s_mov_b32 s10, 0x37ffffff
	v_cmp_lt_u32_e32 vcc, s10, v3
	s_mov_b64 s[10:11], 0
                                        ; implicit-def: $vgpr3
	s_and_saveexec_b64 s[12:13], vcc
	s_xor_b64 s[12:13], exec, s[12:13]
	s_cbranch_execz .LBB21_888
; %bb.776:
	v_bfe_u32 v3, v2, 21, 1
	s_mov_b32 s14, 0x88fffff
	v_add3_u32 v3, v2, v3, s14
	s_mov_b64 s[10:11], exec
	v_lshrrev_b32_e32 v3, 21, v3
	s_or_saveexec_b64 s[12:13], s[12:13]
                                        ; implicit-def: $sgpr14
	s_xor_b64 exec, exec, s[12:13]
	s_cbranch_execnz .LBB21_889
.LBB21_777:
	s_or_b64 exec, exec, s[12:13]
	v_mov_b32_e32 v5, s14
	s_and_saveexec_b64 s[12:13], s[10:11]
.LBB21_778:
	v_lshrrev_b32_e32 v5, 24, v2
	s_movk_i32 s10, 0x80
	v_and_or_b32 v5, v5, s10, v3
.LBB21_779:
	s_or_b64 exec, exec, s[12:13]
.LBB21_780:
	s_or_b64 exec, exec, s[8:9]
	s_mov_b64 s[8:9], 0
	global_store_byte v[0:1], v5, off
.LBB21_781:
	s_and_b64 vcc, exec, s[8:9]
	s_cbranch_vccz .LBB21_791
; %bb.782:
	v_and_b32_e32 v5, 0x7fffffff, v2
	s_mov_b32 s8, 0x43f00000
	v_cmp_gt_u32_e32 vcc, s8, v5
                                        ; implicit-def: $vgpr3
	s_and_saveexec_b64 s[8:9], vcc
	s_xor_b64 s[8:9], exec, s[8:9]
	s_cbranch_execz .LBB21_788
; %bb.783:
	s_mov_b32 s10, 0x3c7fffff
	v_cmp_lt_u32_e32 vcc, s10, v5
                                        ; implicit-def: $vgpr3
	s_and_saveexec_b64 s[10:11], vcc
	s_xor_b64 s[10:11], exec, s[10:11]
; %bb.784:
	v_bfe_u32 v3, v2, 20, 1
	s_mov_b32 s12, 0x407ffff
	v_add3_u32 v3, v2, v3, s12
	v_lshrrev_b32_e32 v5, 20, v3
	v_and_b32_e32 v3, 0xff00000, v3
	s_mov_b32 s12, 0x7f00000
	v_mov_b32_e32 v7, 0x7e
	v_cmp_ne_u32_e32 vcc, s12, v3
	v_cndmask_b32_e32 v3, v7, v5, vcc
; %bb.785:
	s_andn2_saveexec_b64 s[10:11], s[10:11]
; %bb.786:
	s_mov_b32 s12, 0x46800000
	v_add_f32_e64 v3, |v2|, s12
; %bb.787:
	s_or_b64 exec, exec, s[10:11]
                                        ; implicit-def: $vgpr5
.LBB21_788:
	s_andn2_saveexec_b64 s[8:9], s[8:9]
; %bb.789:
	s_mov_b32 s10, 0x7f800000
	v_mov_b32_e32 v3, 0x7e
	v_mov_b32_e32 v7, 0x7f
	v_cmp_lt_u32_e32 vcc, s10, v5
	v_cndmask_b32_e32 v3, v3, v7, vcc
; %bb.790:
	s_or_b64 exec, exec, s[8:9]
	v_lshrrev_b32_e32 v5, 24, v2
	s_movk_i32 s8, 0x80
	v_and_or_b32 v3, v5, s8, v3
	global_store_byte v[0:1], v3, off
.LBB21_791:
	s_mov_b64 s[8:9], 0
.LBB21_792:
	s_andn2_b64 vcc, exec, s[8:9]
	s_cbranch_vccnz .LBB21_802
; %bb.793:
	v_and_b32_e32 v5, 0x7fffffff, v2
	s_mov_b32 s8, 0x47800000
	v_cmp_gt_u32_e32 vcc, s8, v5
                                        ; implicit-def: $vgpr3
	s_and_saveexec_b64 s[8:9], vcc
	s_xor_b64 s[8:9], exec, s[8:9]
	s_cbranch_execz .LBB21_799
; %bb.794:
	s_mov_b32 s10, 0x387fffff
	v_cmp_lt_u32_e32 vcc, s10, v5
                                        ; implicit-def: $vgpr3
	s_and_saveexec_b64 s[10:11], vcc
	s_xor_b64 s[10:11], exec, s[10:11]
; %bb.795:
	v_bfe_u32 v3, v2, 21, 1
	s_mov_b32 s12, 0x80fffff
	v_add3_u32 v3, v2, v3, s12
	v_lshrrev_b32_e32 v3, 21, v3
; %bb.796:
	s_andn2_saveexec_b64 s[10:11], s[10:11]
; %bb.797:
	s_mov_b32 s12, 0x43000000
	v_add_f32_e64 v3, |v2|, s12
; %bb.798:
	s_or_b64 exec, exec, s[10:11]
                                        ; implicit-def: $vgpr5
.LBB21_799:
	s_andn2_saveexec_b64 s[8:9], s[8:9]
; %bb.800:
	s_mov_b32 s10, 0x7f800000
	v_mov_b32_e32 v3, 0x7c
	v_mov_b32_e32 v7, 0x7f
	v_cmp_lt_u32_e32 vcc, s10, v5
	v_cndmask_b32_e32 v3, v3, v7, vcc
; %bb.801:
	s_or_b64 exec, exec, s[8:9]
	v_lshrrev_b32_e32 v5, 24, v2
	s_movk_i32 s8, 0x80
	v_and_or_b32 v3, v5, s8, v3
	global_store_byte v[0:1], v3, off
.LBB21_802:
	s_mov_b64 s[10:11], 0
	s_mov_b64 s[8:9], -1
.LBB21_803:
	s_andn2_b64 vcc, exec, s[10:11]
	s_cbranch_vccnz .LBB21_811
; %bb.804:
	v_mov_b32_e32 v3, 14
	v_cmp_gt_i16_sdwa s[12:13], v6, v3 src0_sel:BYTE_0 src1_sel:DWORD
	s_mov_b64 s[10:11], -1
	s_and_b64 vcc, exec, s[12:13]
	s_cbranch_vccz .LBB21_808
; %bb.805:
	v_mov_b32_e32 v3, 15
	v_cmp_eq_u16_sdwa s[10:11], v6, v3 src0_sel:BYTE_0 src1_sel:DWORD
	s_mov_b64 s[0:1], -1
	s_and_b64 vcc, exec, s[10:11]
	s_cbranch_vccz .LBB21_807
; %bb.806:
	v_bfe_u32 v3, v2, 16, 1
	s_movk_i32 s0, 0x7fff
	v_add3_u32 v3, v2, v3, s0
	v_lshrrev_b32_e32 v3, 16, v3
	v_mov_b32_e32 v5, 0x7fc0
	v_cmp_o_f32_e32 vcc, v2, v2
	v_cndmask_b32_e32 v3, v5, v3, vcc
	global_store_short v[0:1], v3, off
	s_mov_b64 s[8:9], -1
	s_mov_b64 s[0:1], 0
.LBB21_807:
	s_mov_b64 s[10:11], 0
.LBB21_808:
	s_and_b64 vcc, exec, s[10:11]
	s_cbranch_vccz .LBB21_811
; %bb.809:
	v_mov_b32_e32 v3, 11
	v_cmp_eq_u16_sdwa s[10:11], v6, v3 src0_sel:BYTE_0 src1_sel:DWORD
	s_mov_b64 s[0:1], -1
	s_and_b64 vcc, exec, s[10:11]
	s_cbranch_vccz .LBB21_811
; %bb.810:
	v_cmp_neq_f32_e32 vcc, 0, v2
	v_cndmask_b32_e64 v3, 0, 1, vcc
	s_mov_b64 s[8:9], -1
	s_mov_b64 s[0:1], 0
	global_store_byte v[0:1], v3, off
.LBB21_811:
	s_mov_b64 s[10:11], 0
.LBB21_812:
	s_and_b64 vcc, exec, s[10:11]
	s_cbranch_vccz .LBB21_851
; %bb.813:
	v_mov_b32_e32 v3, 5
	v_cmp_lt_i16_sdwa s[10:11], v6, v3 src0_sel:BYTE_0 src1_sel:DWORD
	s_mov_b64 s[8:9], -1
	s_and_b64 vcc, exec, s[10:11]
	s_cbranch_vccnz .LBB21_834
; %bb.814:
	v_mov_b32_e32 v3, 8
	v_cmp_lt_i16_sdwa s[10:11], v6, v3 src0_sel:BYTE_0 src1_sel:DWORD
	s_and_b64 vcc, exec, s[10:11]
	s_cbranch_vccnz .LBB21_824
; %bb.815:
	v_mov_b32_e32 v3, 9
	v_cmp_lt_i16_sdwa s[10:11], v6, v3 src0_sel:BYTE_0 src1_sel:DWORD
	s_and_b64 vcc, exec, s[10:11]
	s_cbranch_vccnz .LBB21_821
; %bb.816:
	v_cmp_gt_i16_sdwa s[10:11], v6, v3 src0_sel:BYTE_0 src1_sel:DWORD
	s_and_b64 vcc, exec, s[10:11]
	s_cbranch_vccz .LBB21_818
; %bb.817:
	v_mov_b32_e32 v10, 0
	v_cvt_f64_f32_e32 v[8:9], v2
	v_mov_b32_e32 v11, v10
	s_mov_b64 s[8:9], 0
	global_store_dwordx4 v[0:1], v[8:11], off
.LBB21_818:
	s_andn2_b64 vcc, exec, s[8:9]
	s_cbranch_vccnz .LBB21_820
; %bb.819:
	v_mov_b32_e32 v3, 0
	global_store_dwordx2 v[0:1], v[2:3], off
.LBB21_820:
	s_mov_b64 s[8:9], 0
.LBB21_821:
	s_andn2_b64 vcc, exec, s[8:9]
	s_cbranch_vccnz .LBB21_823
; %bb.822:
	v_cvt_f16_f32_e32 v3, v2
	global_store_dword v[0:1], v3, off
.LBB21_823:
	s_mov_b64 s[8:9], 0
.LBB21_824:
	s_andn2_b64 vcc, exec, s[8:9]
	s_cbranch_vccnz .LBB21_833
; %bb.825:
	v_mov_b32_e32 v3, 6
	v_cmp_lt_i16_sdwa s[10:11], v6, v3 src0_sel:BYTE_0 src1_sel:DWORD
	s_mov_b64 s[8:9], -1
	s_and_b64 vcc, exec, s[10:11]
	s_cbranch_vccnz .LBB21_831
; %bb.826:
	v_cmp_gt_i16_sdwa s[10:11], v6, v3 src0_sel:BYTE_0 src1_sel:DWORD
	s_and_b64 vcc, exec, s[10:11]
	s_cbranch_vccz .LBB21_828
; %bb.827:
	v_cvt_f64_f32_e32 v[8:9], v2
	s_mov_b64 s[8:9], 0
	global_store_dwordx2 v[0:1], v[8:9], off
.LBB21_828:
	s_andn2_b64 vcc, exec, s[8:9]
	s_cbranch_vccnz .LBB21_830
; %bb.829:
	global_store_dword v[0:1], v2, off
.LBB21_830:
	s_mov_b64 s[8:9], 0
.LBB21_831:
	s_andn2_b64 vcc, exec, s[8:9]
	s_cbranch_vccnz .LBB21_833
; %bb.832:
	v_cvt_f16_f32_e32 v3, v2
	global_store_short v[0:1], v3, off
.LBB21_833:
	s_mov_b64 s[8:9], 0
.LBB21_834:
	s_andn2_b64 vcc, exec, s[8:9]
	s_cbranch_vccnz .LBB21_850
; %bb.835:
	v_mov_b32_e32 v3, 2
	v_cmp_lt_i16_sdwa s[10:11], v6, v3 src0_sel:BYTE_0 src1_sel:DWORD
	s_mov_b64 s[8:9], -1
	s_and_b64 vcc, exec, s[10:11]
	s_cbranch_vccnz .LBB21_845
; %bb.836:
	v_mov_b32_e32 v3, 3
	v_cmp_lt_i16_sdwa s[10:11], v6, v3 src0_sel:BYTE_0 src1_sel:DWORD
	s_and_b64 vcc, exec, s[10:11]
	s_cbranch_vccnz .LBB21_842
; %bb.837:
	v_cmp_gt_i16_sdwa s[10:11], v6, v3 src0_sel:BYTE_0 src1_sel:DWORD
	s_and_b64 vcc, exec, s[10:11]
	s_cbranch_vccz .LBB21_839
; %bb.838:
	v_trunc_f32_e32 v3, v2
	s_mov_b32 s8, 0x2f800000
	v_mul_f32_e64 v5, |v3|, s8
	v_floor_f32_e32 v5, v5
	s_mov_b32 s8, 0xcf800000
	v_cvt_u32_f32_e32 v7, v5
	v_fma_f32 v5, v5, s8, |v3|
	v_cvt_u32_f32_e32 v5, v5
	v_ashrrev_i32_e32 v3, 31, v3
	v_xor_b32_e32 v7, v7, v3
	s_mov_b64 s[8:9], 0
	v_xor_b32_e32 v5, v5, v3
	v_sub_co_u32_e32 v8, vcc, v5, v3
	v_subb_co_u32_e32 v9, vcc, v7, v3, vcc
	global_store_dwordx2 v[0:1], v[8:9], off
.LBB21_839:
	s_andn2_b64 vcc, exec, s[8:9]
	s_cbranch_vccnz .LBB21_841
; %bb.840:
	v_cvt_i32_f32_e32 v3, v2
	global_store_dword v[0:1], v3, off
.LBB21_841:
	s_mov_b64 s[8:9], 0
.LBB21_842:
	s_andn2_b64 vcc, exec, s[8:9]
	s_cbranch_vccnz .LBB21_844
; %bb.843:
	v_cvt_i32_f32_e32 v3, v2
	global_store_short v[0:1], v3, off
.LBB21_844:
	s_mov_b64 s[8:9], 0
.LBB21_845:
	s_andn2_b64 vcc, exec, s[8:9]
	s_cbranch_vccnz .LBB21_850
; %bb.846:
	v_mov_b32_e32 v3, 0
	v_cmp_gt_i16_sdwa s[10:11], v6, v3 src0_sel:BYTE_0 src1_sel:DWORD
	s_mov_b64 s[8:9], -1
	s_and_b64 vcc, exec, s[10:11]
	s_cbranch_vccz .LBB21_848
; %bb.847:
	v_cvt_i32_f32_e32 v3, v2
	s_mov_b64 s[8:9], 0
	global_store_byte v[0:1], v3, off
.LBB21_848:
	s_andn2_b64 vcc, exec, s[8:9]
	s_cbranch_vccnz .LBB21_850
; %bb.849:
	v_trunc_f32_e32 v2, v2
	s_mov_b32 s8, 0x2f800000
	v_mul_f32_e64 v3, |v2|, s8
	v_floor_f32_e32 v3, v3
	s_mov_b32 s8, 0xcf800000
	v_fma_f32 v3, v3, s8, |v2|
	v_cvt_u32_f32_e32 v3, v3
	v_ashrrev_i32_e32 v2, 31, v2
	v_xor_b32_e32 v3, v3, v2
	v_sub_u32_e32 v2, v3, v2
	global_store_byte v[0:1], v2, off
.LBB21_850:
	s_mov_b64 s[8:9], -1
.LBB21_851:
	s_andn2_b64 vcc, exec, s[8:9]
	s_cbranch_vccnz .LBB21_853
; %bb.852:
	v_add_u32_e32 v13, 0x80, v13
	s_mov_b64 s[8:9], -1
	s_branch .LBB21_855
.LBB21_853:
	s_mov_b64 s[8:9], 0
.LBB21_854:
                                        ; implicit-def: $vgpr13
.LBB21_855:
	s_andn2_b64 s[10:11], s[60:61], exec
	s_and_b64 s[0:1], s[0:1], exec
	s_or_b64 s[68:69], s[10:11], s[0:1]
	s_andn2_b64 s[0:1], s[58:59], exec
	s_and_b64 s[2:3], s[2:3], exec
	s_or_b64 s[66:67], s[0:1], s[2:3]
	s_orn2_b64 s[2:3], s[8:9], exec
.LBB21_856:
	s_or_b64 exec, exec, s[64:65]
	s_mov_b64 s[0:1], 0
	s_mov_b64 s[8:9], 0
	;; [unrolled: 1-line block ×3, first 2 shown]
                                        ; implicit-def: $vgpr2_vgpr3
                                        ; implicit-def: $vgpr0
                                        ; implicit-def: $vgpr1
	s_and_saveexec_b64 s[64:65], s[2:3]
	s_cbranch_execz .LBB21_956
; %bb.857:
	v_cmp_gt_i32_e32 vcc, s72, v13
	s_mov_b64 s[2:3], 0
	s_mov_b64 s[12:13], s[66:67]
                                        ; implicit-def: $vgpr2_vgpr3
                                        ; implicit-def: $vgpr0
                                        ; implicit-def: $vgpr1
	s_and_saveexec_b64 s[70:71], vcc
	s_cbranch_execz .LBB21_955
; %bb.858:
	s_andn2_b64 vcc, exec, s[40:41]
	s_cbranch_vccnz .LBB21_864
; %bb.859:
	s_mov_b32 s72, 0
	s_andn2_b64 vcc, exec, s[50:51]
	v_mov_b32_e32 v2, 0
	v_mov_b32_e32 v0, 0
	s_cbranch_vccnz .LBB21_870
; %bb.860:
	s_add_i32 s75, s73, 1
	s_cmp_eq_u32 s74, 2
	s_cbranch_scc1 .LBB21_865
; %bb.861:
	s_and_b32 s72, s75, 28
	s_mov_b32 s73, 0
	v_mov_b32_e32 v0, 0
	s_mov_b64 s[50:51], s[34:35]
	v_mov_b32_e32 v3, v13
	v_mov_b32_e32 v2, 0
.LBB21_862:                             ; =>This Inner Loop Header: Depth=1
	s_load_dwordx8 s[16:23], s[50:51], 0x4
	s_load_dwordx4 s[0:3], s[50:51], 0x24
	s_load_dwordx8 s[8:15], s[48:49], 0x0
	s_add_u32 s50, s50, 48
	s_addc_u32 s51, s51, 0
	s_waitcnt vmcnt(0) lgkmcnt(0)
	v_mul_hi_u32 v1, s17, v3
	v_add_u32_e32 v1, v3, v1
	v_lshrrev_b32_e32 v1, s18, v1
	v_mul_lo_u32 v5, v1, s16
	v_mul_hi_u32 v7, s20, v1
	v_sub_u32_e32 v3, v3, v5
	v_add_u32_e32 v5, v1, v7
	v_lshrrev_b32_e32 v5, s21, v5
	v_mul_lo_u32 v8, v5, s19
	v_mul_hi_u32 v9, s23, v5
	v_sub_u32_e32 v1, v1, v8
	v_add_u32_e32 v8, v5, v9
	v_mul_lo_u32 v7, v3, s9
	v_mul_lo_u32 v3, v3, s8
	;; [unrolled: 1-line block ×4, first 2 shown]
	v_lshrrev_b32_e32 v8, s0, v8
	v_add3_u32 v0, v3, v0, v1
	v_mul_hi_u32 v3, s2, v8
	v_add_u32_e32 v3, v8, v3
	v_lshrrev_b32_e32 v3, s3, v3
	s_add_i32 s73, s73, 4
	v_add3_u32 v1, v7, v2, v9
	v_mul_lo_u32 v2, v8, s22
	v_mul_lo_u32 v7, v3, s1
	s_add_u32 s48, s48, 32
	v_sub_u32_e32 v2, v5, v2
	v_sub_u32_e32 v7, v8, v7
	s_addc_u32 s49, s49, 0
	v_mul_lo_u32 v5, v2, s12
	v_mul_lo_u32 v2, v2, s13
	v_mul_lo_u32 v8, v7, s14
	v_mul_lo_u32 v7, v7, s15
	s_cmp_eq_u32 s72, s73
	v_add3_u32 v2, v2, v1, v7
	v_add3_u32 v0, v5, v0, v8
	s_cbranch_scc0 .LBB21_862
; %bb.863:
	v_mov_b32_e32 v1, v2
	s_branch .LBB21_866
.LBB21_864:
	s_mov_b64 s[0:1], -1
                                        ; implicit-def: $vgpr2
                                        ; implicit-def: $vgpr0
	s_branch .LBB21_871
.LBB21_865:
	s_mov_b32 s73, s72
	s_waitcnt vmcnt(0)
	v_pk_mov_b32 v[0:1], s[72:73], s[72:73] op_sel:[0,1]
                                        ; implicit-def: $vgpr2
	v_mov_b32_e32 v3, v13
.LBB21_866:
	s_and_b32 s8, s75, 3
	s_cmp_eq_u32 s8, 0
	s_cbranch_scc1 .LBB21_870
; %bb.867:
	s_lshl_b32 s0, s72, 3
	s_add_u32 s0, s0, s34
	s_addc_u32 s1, s35, 0
	s_add_u32 s0, s0, 0xc4
	s_addc_u32 s1, s1, 0
	s_mul_i32 s2, s72, 12
	s_add_u32 s2, s34, s2
	s_addc_u32 s3, s35, 0
.LBB21_868:                             ; =>This Inner Loop Header: Depth=1
	s_load_dwordx2 s[10:11], s[2:3], 0x4
	s_load_dword s9, s[2:3], 0xc
	s_load_dwordx2 s[12:13], s[0:1], 0x0
	v_mov_b32_e32 v2, v1
	s_add_u32 s2, s2, 12
	s_waitcnt lgkmcnt(0)
	v_mul_hi_u32 v1, s11, v3
	v_add_u32_e32 v1, v3, v1
	v_lshrrev_b32_e32 v1, s9, v1
	s_addc_u32 s3, s3, 0
	v_mul_lo_u32 v5, v1, s10
	s_add_u32 s0, s0, 8
	v_sub_u32_e32 v5, v3, v5
	v_mov_b32_e32 v3, v1
	s_addc_u32 s1, s1, 0
	s_add_i32 s8, s8, -1
	v_mad_u64_u32 v[8:9], s[10:11], v5, s13, v[2:3]
	v_mad_u64_u32 v[0:1], s[10:11], v5, s12, v[0:1]
	s_cmp_lg_u32 s8, 0
	v_mov_b32_e32 v1, v8
	s_cbranch_scc1 .LBB21_868
; %bb.869:
	v_mov_b32_e32 v2, v1
.LBB21_870:
	s_mov_b64 s[0:1], 0
.LBB21_871:
	s_andn2_b64 vcc, exec, s[0:1]
	s_cbranch_vccnz .LBB21_874
; %bb.872:
	s_waitcnt lgkmcnt(0)
	v_mul_hi_u32 v0, s37, v13
	v_add_u32_e32 v0, v13, v0
	s_waitcnt vmcnt(0)
	v_lshrrev_b32_e32 v1, s38, v0
	v_mul_lo_u32 v0, v1, s36
	v_sub_u32_e32 v0, v13, v0
	v_mul_lo_u32 v2, v0, s29
	s_andn2_b64 vcc, exec, s[46:47]
	v_mul_lo_u32 v0, v0, s28
	s_cbranch_vccnz .LBB21_874
; %bb.873:
	v_mul_hi_u32 v3, s44, v1
	v_add_u32_e32 v3, v1, v3
	v_lshrrev_b32_e32 v3, s45, v3
	v_mul_lo_u32 v3, v3, s39
	v_sub_u32_e32 v3, v1, v3
	v_mad_u64_u32 v[0:1], s[0:1], v3, s30, v[0:1]
	v_mad_u64_u32 v[2:3], s[0:1], v3, s31, v[2:3]
.LBB21_874:
	s_waitcnt vmcnt(0) lgkmcnt(0)
	v_mov_b32_e32 v1, s27
	v_add_co_u32_e32 v2, vcc, s26, v2
	v_addc_co_u32_e32 v3, vcc, 0, v1, vcc
	v_cmp_gt_i16_e32 vcc, 11, v4
	s_cbranch_vccnz .LBB21_881
; %bb.875:
	v_cmp_lt_i16_e32 vcc, 25, v4
	s_mov_b64 s[2:3], 0
	s_cbranch_vccz .LBB21_882
; %bb.876:
	v_cmp_lt_i16_e32 vcc, 28, v4
	s_cbranch_vccz .LBB21_883
; %bb.877:
	v_cmp_lt_i16_e32 vcc, 43, v4
	;; [unrolled: 3-line block ×3, first 2 shown]
	s_cbranch_vccz .LBB21_887
; %bb.879:
	v_cmp_eq_u16_e32 vcc, 46, v4
	s_mov_b64 s[10:11], 0
	s_cbranch_vccz .LBB21_890
; %bb.880:
	global_load_dword v1, v[2:3], off
	s_mov_b64 s[0:1], 0
	s_mov_b64 s[8:9], -1
	s_waitcnt vmcnt(0)
	v_lshlrev_b32_e32 v1, 16, v1
	s_branch .LBB21_891
.LBB21_881:
	s_mov_b64 s[12:13], -1
	s_mov_b64 s[8:9], 0
	s_mov_b64 s[2:3], 0
	;; [unrolled: 1-line block ×3, first 2 shown]
                                        ; implicit-def: $vgpr1
	s_branch .LBB21_954
.LBB21_882:
	s_mov_b64 s[10:11], -1
	s_mov_b64 s[8:9], 0
	s_mov_b64 s[0:1], s[66:67]
                                        ; implicit-def: $vgpr1
	s_branch .LBB21_920
.LBB21_883:
	s_mov_b64 s[10:11], -1
	s_mov_b64 s[8:9], 0
	s_mov_b64 s[0:1], s[66:67]
                                        ; implicit-def: $vgpr1
	s_branch .LBB21_901
.LBB21_884:
	s_mov_b64 s[10:11], -1
	s_mov_b64 s[8:9], 0
	s_mov_b64 s[0:1], s[66:67]
                                        ; implicit-def: $vgpr1
	s_branch .LBB21_896
.LBB21_885:
	s_or_saveexec_b64 s[12:13], s[12:13]
                                        ; implicit-def: $sgpr14
	s_xor_b64 exec, exec, s[12:13]
	s_cbranch_execz .LBB21_764
.LBB21_886:
	s_mov_b32 s14, 0x46000000
	v_add_f32_e64 v3, |v2|, s14
	v_and_b32_e32 v3, 0xff, v3
	v_cmp_ne_u32_e32 vcc, 0, v3
	s_andn2_b64 s[10:11], s[10:11], exec
	s_and_b64 s[16:17], vcc, exec
	s_mov_b32 s14, 0
	s_or_b64 s[10:11], s[10:11], s[16:17]
	s_or_b64 exec, exec, s[12:13]
	v_mov_b32_e32 v5, s14
	s_and_saveexec_b64 s[12:13], s[10:11]
	s_cbranch_execnz .LBB21_765
	s_branch .LBB21_766
.LBB21_887:
	s_mov_b64 s[10:11], -1
	s_mov_b64 s[8:9], 0
	s_mov_b64 s[0:1], s[66:67]
                                        ; implicit-def: $vgpr1
	s_branch .LBB21_891
.LBB21_888:
	s_or_saveexec_b64 s[12:13], s[12:13]
                                        ; implicit-def: $sgpr14
	s_xor_b64 exec, exec, s[12:13]
	s_cbranch_execz .LBB21_777
.LBB21_889:
	s_mov_b32 s14, 0x42800000
	v_add_f32_e64 v3, |v2|, s14
	v_and_b32_e32 v3, 0xff, v3
	v_cmp_ne_u32_e32 vcc, 0, v3
	s_andn2_b64 s[10:11], s[10:11], exec
	s_and_b64 s[16:17], vcc, exec
	s_mov_b32 s14, 0
	s_or_b64 s[10:11], s[10:11], s[16:17]
	s_or_b64 exec, exec, s[12:13]
	v_mov_b32_e32 v5, s14
	s_and_saveexec_b64 s[12:13], s[10:11]
	s_cbranch_execnz .LBB21_778
	s_branch .LBB21_779
.LBB21_890:
	s_mov_b64 s[0:1], -1
                                        ; implicit-def: $vgpr1
	s_mov_b64 s[8:9], 0
.LBB21_891:
	s_and_b64 vcc, exec, s[10:11]
	s_cbranch_vccz .LBB21_895
; %bb.892:
	v_cmp_eq_u16_e32 vcc, 44, v4
	s_cbranch_vccz .LBB21_894
; %bb.893:
	global_load_ubyte v1, v[2:3], off
	s_movk_i32 s8, 0xff
	v_mov_b32_e32 v5, 0x7f800001
	v_mov_b32_e32 v7, 0x400000
	s_mov_b64 s[0:1], 0
	s_waitcnt vmcnt(0)
	v_lshlrev_b32_e32 v8, 23, v1
	v_cmp_ne_u32_e32 vcc, s8, v1
	v_cndmask_b32_e32 v5, v5, v8, vcc
	v_cmp_ne_u32_e32 vcc, 0, v1
	v_cndmask_b32_e32 v1, v7, v5, vcc
	s_mov_b64 s[8:9], -1
	s_branch .LBB21_895
.LBB21_894:
	s_mov_b64 s[0:1], -1
                                        ; implicit-def: $vgpr1
.LBB21_895:
	s_mov_b64 s[10:11], 0
.LBB21_896:
	s_and_b64 vcc, exec, s[10:11]
	s_cbranch_vccz .LBB21_900
; %bb.897:
	v_cmp_eq_u16_e32 vcc, 29, v4
	s_cbranch_vccz .LBB21_899
; %bb.898:
	global_load_dwordx2 v[8:9], v[2:3], off
	s_mov_b64 s[0:1], 0
	s_mov_b64 s[8:9], -1
	s_mov_b64 s[10:11], 0
	s_waitcnt vmcnt(0)
	v_ffbh_u32_e32 v1, v9
	v_min_u32_e32 v1, 32, v1
	v_lshlrev_b64 v[8:9], v1, v[8:9]
	v_min_u32_e32 v5, 1, v8
	v_or_b32_e32 v5, v9, v5
	v_cvt_f32_u32_e32 v5, v5
	v_sub_u32_e32 v1, 32, v1
	v_ldexp_f32 v1, v5, v1
	s_branch .LBB21_901
.LBB21_899:
	s_mov_b64 s[0:1], -1
                                        ; implicit-def: $vgpr1
.LBB21_900:
	s_mov_b64 s[10:11], 0
.LBB21_901:
	s_and_b64 vcc, exec, s[10:11]
	s_cbranch_vccz .LBB21_919
; %bb.902:
	v_cmp_gt_i16_e32 vcc, 27, v4
	s_cbranch_vccnz .LBB21_905
; %bb.903:
	v_cmp_lt_i16_e32 vcc, 27, v4
	s_cbranch_vccz .LBB21_906
; %bb.904:
	global_load_dword v1, v[2:3], off
	s_mov_b64 s[8:9], 0
	s_waitcnt vmcnt(0)
	v_cvt_f32_u32_e32 v1, v1
	s_branch .LBB21_907
.LBB21_905:
	s_mov_b64 s[8:9], -1
                                        ; implicit-def: $vgpr1
	s_branch .LBB21_910
.LBB21_906:
	s_mov_b64 s[8:9], -1
                                        ; implicit-def: $vgpr1
.LBB21_907:
	s_andn2_b64 vcc, exec, s[8:9]
	s_cbranch_vccnz .LBB21_909
; %bb.908:
	global_load_ushort v1, v[2:3], off
	s_waitcnt vmcnt(0)
	v_cvt_f32_u32_e32 v1, v1
.LBB21_909:
	s_mov_b64 s[8:9], 0
.LBB21_910:
	s_andn2_b64 vcc, exec, s[8:9]
	s_cbranch_vccnz .LBB21_918
; %bb.911:
	global_load_ubyte v5, v[2:3], off
	s_movk_i32 s8, 0x7f
                                        ; implicit-def: $sgpr14
	s_waitcnt vmcnt(0)
	v_cmp_lt_i16_e32 vcc, s8, v5
	s_mov_b64 s[8:9], 0
	s_and_saveexec_b64 s[10:11], vcc
	s_xor_b64 s[10:11], exec, s[10:11]
	s_cbranch_execz .LBB21_932
; %bb.912:
	s_movk_i32 s8, 0x80
	v_cmp_eq_u16_e32 vcc, s8, v5
	s_mov_b64 s[8:9], -1
                                        ; implicit-def: $sgpr14
	s_and_saveexec_b64 s[12:13], vcc
; %bb.913:
	s_mov_b32 s14, 0x7f800001
	s_xor_b64 s[8:9], exec, -1
; %bb.914:
	s_or_b64 exec, exec, s[12:13]
	s_and_b64 s[8:9], s[8:9], exec
	s_or_saveexec_b64 s[10:11], s[10:11]
	v_mov_b32_e32 v1, s14
	s_xor_b64 exec, exec, s[10:11]
	s_cbranch_execnz .LBB21_933
.LBB21_915:
	s_or_b64 exec, exec, s[10:11]
	s_and_saveexec_b64 s[10:11], s[8:9]
	s_cbranch_execz .LBB21_917
.LBB21_916:
	v_lshlrev_b32_e32 v1, 24, v5
	v_and_b32_e32 v5, 0xffff, v5
	v_and_b32_e32 v7, 7, v5
	v_ffbh_u32_e32 v9, v7
	v_min_u32_e32 v9, 32, v9
	v_subrev_u32_e32 v10, 28, v9
	v_bfe_u32 v8, v5, 3, 4
	v_lshlrev_b32_e32 v5, v10, v5
	v_sub_u32_e32 v9, 29, v9
	v_and_b32_e32 v5, 7, v5
	v_cmp_eq_u32_e32 vcc, 0, v8
	v_cndmask_b32_e32 v8, v8, v9, vcc
	v_cndmask_b32_e32 v5, v7, v5, vcc
	v_mov_b32_e32 v7, 0x3b800000
	v_lshlrev_b32_e32 v5, 20, v5
	v_and_b32_e32 v1, 0x80000000, v1
	v_lshl_add_u32 v7, v8, 23, v7
	v_or3_b32 v1, v1, v7, v5
.LBB21_917:
	s_or_b64 exec, exec, s[10:11]
.LBB21_918:
	s_mov_b64 s[8:9], -1
.LBB21_919:
	s_mov_b64 s[10:11], 0
.LBB21_920:
	s_and_b64 vcc, exec, s[10:11]
	s_cbranch_vccz .LBB21_953
; %bb.921:
	v_cmp_lt_i16_e32 vcc, 22, v4
	s_cbranch_vccz .LBB21_931
; %bb.922:
	v_cmp_gt_i16_e32 vcc, 24, v4
	s_cbranch_vccnz .LBB21_934
; %bb.923:
	v_cmp_lt_i16_e32 vcc, 24, v4
	s_cbranch_vccz .LBB21_935
; %bb.924:
	global_load_ubyte v5, v[2:3], off
	s_movk_i32 s2, 0x7f
                                        ; implicit-def: $sgpr12
	s_waitcnt vmcnt(0)
	v_cmp_lt_i16_e32 vcc, s2, v5
	s_mov_b64 s[2:3], 0
	s_and_saveexec_b64 s[8:9], vcc
	s_xor_b64 s[8:9], exec, s[8:9]
	s_cbranch_execz .LBB21_947
; %bb.925:
	s_movk_i32 s2, 0x80
	v_cmp_eq_u16_e32 vcc, s2, v5
	s_mov_b64 s[2:3], -1
                                        ; implicit-def: $sgpr12
	s_and_saveexec_b64 s[10:11], vcc
; %bb.926:
	s_mov_b32 s12, 0x7f800001
	s_xor_b64 s[2:3], exec, -1
; %bb.927:
	s_or_b64 exec, exec, s[10:11]
	s_and_b64 s[2:3], s[2:3], exec
	s_or_saveexec_b64 s[8:9], s[8:9]
	v_mov_b32_e32 v1, s12
	s_xor_b64 exec, exec, s[8:9]
	s_cbranch_execnz .LBB21_948
.LBB21_928:
	s_or_b64 exec, exec, s[8:9]
	s_and_saveexec_b64 s[8:9], s[2:3]
	s_cbranch_execz .LBB21_930
.LBB21_929:
	v_lshlrev_b32_e32 v1, 24, v5
	v_and_b32_e32 v5, 0xffff, v5
	v_and_b32_e32 v7, 3, v5
	v_ffbh_u32_e32 v9, v7
	v_min_u32_e32 v9, 32, v9
	v_subrev_u32_e32 v10, 29, v9
	v_bfe_u32 v8, v5, 2, 5
	v_lshlrev_b32_e32 v5, v10, v5
	v_sub_u32_e32 v9, 30, v9
	v_and_b32_e32 v5, 3, v5
	v_cmp_eq_u32_e32 vcc, 0, v8
	v_cndmask_b32_e32 v8, v8, v9, vcc
	v_cndmask_b32_e32 v5, v7, v5, vcc
	v_mov_b32_e32 v7, 0x37800000
	v_lshlrev_b32_e32 v5, 21, v5
	v_and_b32_e32 v1, 0x80000000, v1
	v_lshl_add_u32 v7, v8, 23, v7
	v_or3_b32 v1, v1, v7, v5
.LBB21_930:
	s_or_b64 exec, exec, s[8:9]
	s_mov_b64 s[2:3], 0
	s_branch .LBB21_936
.LBB21_931:
	s_mov_b64 s[2:3], -1
                                        ; implicit-def: $vgpr1
	s_branch .LBB21_942
.LBB21_932:
	s_or_saveexec_b64 s[10:11], s[10:11]
	v_mov_b32_e32 v1, s14
	s_xor_b64 exec, exec, s[10:11]
	s_cbranch_execz .LBB21_915
.LBB21_933:
	v_cmp_ne_u16_e32 vcc, 0, v5
	s_andn2_b64 s[8:9], s[8:9], exec
	s_and_b64 s[12:13], vcc, exec
	v_mov_b32_e32 v1, 0
	s_or_b64 s[8:9], s[8:9], s[12:13]
	s_or_b64 exec, exec, s[10:11]
	s_and_saveexec_b64 s[10:11], s[8:9]
	s_cbranch_execnz .LBB21_916
	s_branch .LBB21_917
.LBB21_934:
	s_mov_b64 s[2:3], -1
                                        ; implicit-def: $vgpr1
	s_branch .LBB21_939
.LBB21_935:
	s_mov_b64 s[2:3], -1
                                        ; implicit-def: $vgpr1
.LBB21_936:
	s_and_b64 vcc, exec, s[2:3]
	s_cbranch_vccz .LBB21_938
; %bb.937:
	global_load_ubyte v1, v[2:3], off
	s_mov_b32 s2, 0x7f800000
	s_waitcnt vmcnt(0)
	v_lshlrev_b32_e32 v1, 24, v1
	v_and_b32_e32 v5, 0x7f000000, v1
	v_ffbh_u32_e32 v7, v5
	v_min_u32_e32 v7, 32, v7
	v_sub_u32_e64 v7, v7, 4 clamp
	v_lshlrev_b32_e32 v9, v7, v5
	v_lshlrev_b32_e32 v7, 23, v7
	v_lshrrev_b32_e32 v9, 4, v9
	v_add_u32_e32 v8, 0x1000000, v5
	v_sub_u32_e32 v7, v9, v7
	v_ashrrev_i32_e32 v8, 8, v8
	v_add_u32_e32 v7, 0x3c000000, v7
	v_and_or_b32 v7, v8, s2, v7
	v_cmp_ne_u32_e32 vcc, 0, v5
	v_cndmask_b32_e32 v5, 0, v7, vcc
	s_brev_b32 s2, 1
	v_and_or_b32 v1, v1, s2, v5
.LBB21_938:
	s_mov_b64 s[2:3], 0
.LBB21_939:
	s_andn2_b64 vcc, exec, s[2:3]
	s_cbranch_vccnz .LBB21_941
; %bb.940:
	global_load_ubyte v1, v[2:3], off
	s_movk_i32 s2, 0x7f00
	s_brev_b32 s3, 16
	s_waitcnt vmcnt(0)
	v_lshlrev_b16_e32 v5, 8, v1
	v_lshlrev_b32_e32 v1, 25, v1
	v_lshrrev_b32_e32 v7, 4, v1
	v_and_or_b32 v8, v5, s2, 0.5
	v_or_b32_e32 v7, 0x70000000, v7
	v_add_f32_e32 v8, -0.5, v8
	v_mul_f32_e32 v7, 0x7800000, v7
	v_cmp_gt_u32_e32 vcc, s3, v1
	v_bfe_i32 v5, v5, 0, 16
	v_cndmask_b32_e32 v1, v7, v8, vcc
	s_brev_b32 s2, 1
	v_and_or_b32 v1, v5, s2, v1
.LBB21_941:
	s_mov_b64 s[2:3], 0
	s_mov_b64 s[8:9], -1
.LBB21_942:
	s_andn2_b64 vcc, exec, s[2:3]
	s_mov_b64 s[2:3], 0
	s_cbranch_vccnz .LBB21_953
; %bb.943:
	v_cmp_lt_i16_e32 vcc, 14, v4
	s_cbranch_vccz .LBB21_946
; %bb.944:
	v_cmp_eq_u16_e32 vcc, 15, v4
	s_cbranch_vccz .LBB21_949
; %bb.945:
	global_load_ushort v1, v[2:3], off
	s_mov_b64 s[0:1], 0
	s_mov_b64 s[8:9], -1
	s_waitcnt vmcnt(0)
	v_lshlrev_b32_e32 v1, 16, v1
	s_branch .LBB21_950
.LBB21_946:
	s_mov_b64 s[10:11], -1
                                        ; implicit-def: $vgpr1
	s_branch .LBB21_951
.LBB21_947:
	s_or_saveexec_b64 s[8:9], s[8:9]
	v_mov_b32_e32 v1, s12
	s_xor_b64 exec, exec, s[8:9]
	s_cbranch_execz .LBB21_928
.LBB21_948:
	v_cmp_ne_u16_e32 vcc, 0, v5
	s_andn2_b64 s[2:3], s[2:3], exec
	s_and_b64 s[10:11], vcc, exec
	v_mov_b32_e32 v1, 0
	s_or_b64 s[2:3], s[2:3], s[10:11]
	s_or_b64 exec, exec, s[8:9]
	s_and_saveexec_b64 s[8:9], s[2:3]
	s_cbranch_execnz .LBB21_929
	s_branch .LBB21_930
.LBB21_949:
	s_mov_b64 s[0:1], -1
                                        ; implicit-def: $vgpr1
.LBB21_950:
	s_mov_b64 s[10:11], 0
.LBB21_951:
	s_and_b64 vcc, exec, s[10:11]
	s_cbranch_vccz .LBB21_953
; %bb.952:
	v_cmp_ne_u16_e32 vcc, 11, v4
	s_andn2_b64 s[0:1], s[0:1], exec
	s_and_b64 s[10:11], vcc, exec
	s_mov_b64 s[2:3], -1
	s_or_b64 s[0:1], s[0:1], s[10:11]
                                        ; implicit-def: $vgpr1
.LBB21_953:
	s_mov_b64 s[12:13], 0
.LBB21_954:
	s_and_b64 s[10:11], s[8:9], exec
	s_and_b64 s[8:9], s[12:13], exec
	s_andn2_b64 s[12:13], s[66:67], exec
	s_and_b64 s[0:1], s[0:1], exec
	s_and_b64 s[2:3], s[2:3], exec
	s_or_b64 s[12:13], s[12:13], s[0:1]
.LBB21_955:
	s_or_b64 exec, exec, s[70:71]
	s_and_b64 s[0:1], s[2:3], exec
	s_andn2_b64 s[2:3], s[66:67], exec
	s_and_b64 s[12:13], s[12:13], exec
	s_and_b64 s[10:11], s[10:11], exec
	;; [unrolled: 1-line block ×3, first 2 shown]
	s_or_b64 s[66:67], s[2:3], s[12:13]
.LBB21_956:
	s_or_b64 exec, exec, s[64:65]
	s_andn2_b64 s[2:3], s[60:61], exec
	s_and_b64 s[12:13], s[68:69], exec
	s_or_b64 s[60:61], s[2:3], s[12:13]
	s_and_b64 s[2:3], s[0:1], exec
	s_andn2_b64 s[0:1], s[58:59], exec
	s_and_b64 s[12:13], s[66:67], exec
	s_and_b64 s[10:11], s[10:11], exec
	s_and_b64 s[8:9], s[8:9], exec
	s_or_b64 s[58:59], s[0:1], s[12:13]
.LBB21_957:
	s_or_b64 exec, exec, s[62:63]
	s_andn2_b64 s[0:1], s[52:53], exec
	s_and_b64 s[12:13], s[60:61], exec
	s_or_b64 s[52:53], s[0:1], s[12:13]
	s_and_b64 s[0:1], s[10:11], exec
	s_and_b64 s[10:11], s[8:9], exec
	;; [unrolled: 1-line block ×3, first 2 shown]
	s_andn2_b64 s[2:3], s[54:55], exec
	s_and_b64 s[8:9], s[58:59], exec
	s_or_b64 s[54:55], s[2:3], s[8:9]
	s_or_b64 exec, exec, s[56:57]
	s_mov_b64 s[2:3], 0
	s_and_saveexec_b64 s[8:9], s[54:55]
	s_cbranch_execz .LBB21_288
.LBB21_958:
	s_mov_b64 s[2:3], exec
	s_andn2_b64 s[60:61], s[60:61], exec
	s_trap 2
                                        ; implicit-def: $vgpr1
	s_or_b64 exec, exec, s[8:9]
	s_and_saveexec_b64 s[8:9], s[60:61]
	s_xor_b64 s[8:9], exec, s[8:9]
	s_cbranch_execnz .LBB21_289
.LBB21_959:
	s_or_b64 exec, exec, s[8:9]
	s_and_saveexec_b64 s[8:9], s[10:11]
	s_cbranch_execz .LBB21_1005
.LBB21_960:
	v_cmp_gt_i16_e32 vcc, 5, v4
	s_cbranch_vccnz .LBB21_965
; %bb.961:
	v_cmp_gt_i16_e32 vcc, 8, v4
	s_cbranch_vccnz .LBB21_966
; %bb.962:
	;; [unrolled: 3-line block ×3, first 2 shown]
	v_cmp_lt_i16_e32 vcc, 9, v4
	s_cbranch_vccz .LBB21_968
; %bb.964:
	global_load_dwordx2 v[8:9], v[2:3], off
	s_mov_b64 s[10:11], 0
	s_waitcnt vmcnt(0)
	v_cvt_f32_f64_e32 v1, v[8:9]
	s_branch .LBB21_969
.LBB21_965:
                                        ; implicit-def: $vgpr1
	s_branch .LBB21_986
.LBB21_966:
                                        ; implicit-def: $vgpr1
	s_branch .LBB21_975
.LBB21_967:
	s_mov_b64 s[10:11], -1
                                        ; implicit-def: $vgpr1
	s_branch .LBB21_972
.LBB21_968:
	s_mov_b64 s[10:11], -1
                                        ; implicit-def: $vgpr1
.LBB21_969:
	s_andn2_b64 vcc, exec, s[10:11]
	s_cbranch_vccnz .LBB21_971
; %bb.970:
	global_load_dword v1, v[2:3], off
.LBB21_971:
	s_mov_b64 s[10:11], 0
.LBB21_972:
	s_andn2_b64 vcc, exec, s[10:11]
	s_cbranch_vccnz .LBB21_974
; %bb.973:
	global_load_dword v1, v[2:3], off
	s_waitcnt vmcnt(0)
	v_cvt_f32_f16_e32 v1, v1
.LBB21_974:
	s_cbranch_execnz .LBB21_985
.LBB21_975:
	v_cmp_gt_i16_e32 vcc, 6, v4
	s_cbranch_vccnz .LBB21_978
; %bb.976:
	v_cmp_lt_i16_e32 vcc, 6, v4
	s_cbranch_vccz .LBB21_979
; %bb.977:
	global_load_dwordx2 v[8:9], v[2:3], off
	s_mov_b64 s[10:11], 0
	s_waitcnt vmcnt(0)
	v_cvt_f32_f64_e32 v1, v[8:9]
	s_branch .LBB21_980
.LBB21_978:
	s_mov_b64 s[10:11], -1
                                        ; implicit-def: $vgpr1
	s_branch .LBB21_983
.LBB21_979:
	s_mov_b64 s[10:11], -1
                                        ; implicit-def: $vgpr1
.LBB21_980:
	s_andn2_b64 vcc, exec, s[10:11]
	s_cbranch_vccnz .LBB21_982
; %bb.981:
	global_load_dword v1, v[2:3], off
.LBB21_982:
	s_mov_b64 s[10:11], 0
.LBB21_983:
	s_andn2_b64 vcc, exec, s[10:11]
	s_cbranch_vccnz .LBB21_985
; %bb.984:
	global_load_ushort v1, v[2:3], off
	s_waitcnt vmcnt(0)
	v_cvt_f32_f16_e32 v1, v1
.LBB21_985:
	s_cbranch_execnz .LBB21_1004
.LBB21_986:
	v_cmp_gt_i16_e32 vcc, 2, v4
	s_cbranch_vccnz .LBB21_990
; %bb.987:
	v_cmp_gt_i16_e32 vcc, 3, v4
	s_cbranch_vccnz .LBB21_991
; %bb.988:
	v_cmp_lt_i16_e32 vcc, 3, v4
	s_cbranch_vccz .LBB21_992
; %bb.989:
	global_load_dwordx2 v[8:9], v[2:3], off
	s_mov_b64 s[10:11], 0
	s_waitcnt vmcnt(0)
	v_xor_b32_e32 v5, v8, v9
	v_ffbh_i32_e32 v1, v9
	v_ashrrev_i32_e32 v5, 31, v5
	v_add_u32_e32 v1, -1, v1
	v_add_u32_e32 v5, 32, v5
	v_min_u32_e32 v1, v1, v5
	v_lshlrev_b64 v[8:9], v1, v[8:9]
	v_min_u32_e32 v5, 1, v8
	v_or_b32_e32 v5, v9, v5
	v_cvt_f32_i32_e32 v5, v5
	v_sub_u32_e32 v1, 32, v1
	v_ldexp_f32 v1, v5, v1
	s_branch .LBB21_993
.LBB21_990:
                                        ; implicit-def: $vgpr1
	s_branch .LBB21_999
.LBB21_991:
	s_mov_b64 s[10:11], -1
                                        ; implicit-def: $vgpr1
	s_branch .LBB21_996
.LBB21_992:
	s_mov_b64 s[10:11], -1
                                        ; implicit-def: $vgpr1
.LBB21_993:
	s_andn2_b64 vcc, exec, s[10:11]
	s_cbranch_vccnz .LBB21_995
; %bb.994:
	global_load_dword v1, v[2:3], off
	s_waitcnt vmcnt(0)
	v_cvt_f32_i32_e32 v1, v1
.LBB21_995:
	s_mov_b64 s[10:11], 0
.LBB21_996:
	s_andn2_b64 vcc, exec, s[10:11]
	s_cbranch_vccnz .LBB21_998
; %bb.997:
	global_load_sshort v1, v[2:3], off
	s_waitcnt vmcnt(0)
	v_cvt_f32_i32_e32 v1, v1
.LBB21_998:
	s_cbranch_execnz .LBB21_1004
.LBB21_999:
	v_cmp_lt_i16_e32 vcc, 0, v4
	s_cbranch_vccz .LBB21_1001
; %bb.1000:
	global_load_sbyte v1, v[2:3], off
	s_mov_b64 s[10:11], 0
	s_waitcnt vmcnt(0)
	v_cvt_f32_i32_e32 v1, v1
	s_branch .LBB21_1002
.LBB21_1001:
	s_mov_b64 s[10:11], -1
                                        ; implicit-def: $vgpr1
.LBB21_1002:
	s_andn2_b64 vcc, exec, s[10:11]
	s_cbranch_vccnz .LBB21_1004
; %bb.1003:
	global_load_ubyte v1, v[2:3], off
	s_waitcnt vmcnt(0)
	v_cvt_f32_ubyte0_e32 v1, v1
.LBB21_1004:
	s_or_b64 s[0:1], s[0:1], exec
.LBB21_1005:
	s_or_b64 exec, exec, s[8:9]
	s_mov_b64 s[12:13], 0
	s_mov_b64 s[10:11], 0
                                        ; implicit-def: $vgpr7
                                        ; implicit-def: $vgpr4_vgpr5
                                        ; implicit-def: $vgpr2
	s_and_saveexec_b64 s[8:9], s[0:1]
	s_cbranch_execz .LBB21_1035
; %bb.1006:
	s_waitcnt vmcnt(0)
	v_cmp_neq_f32_e32 vcc, 0, v1
	v_mov_b32_e32 v2, 0x7f800000
	s_and_saveexec_b64 s[10:11], vcc
	s_cbranch_execz .LBB21_1018
; %bb.1007:
	v_cmp_ngt_f32_e32 vcc, 0, v1
	v_mov_b32_e32 v2, 0x7fc00000
	s_and_saveexec_b64 s[12:13], vcc
	s_cbranch_execz .LBB21_1017
; %bb.1008:
	v_cmp_ge_f32_e32 vcc, 2.0, v1
                                        ; implicit-def: $vgpr2
	s_and_saveexec_b64 s[0:1], vcc
	s_xor_b64 s[14:15], exec, s[0:1]
	s_cbranch_execz .LBB21_1014
; %bb.1009:
	s_mov_b32 s0, 0x41000000
	v_mul_f32_e32 v2, 0.5, v1
	v_cmp_ge_f32_e32 vcc, s0, v1
                                        ; implicit-def: $vgpr4
                                        ; implicit-def: $vgpr3
	s_and_saveexec_b64 s[0:1], vcc
	s_xor_b64 s[0:1], exec, s[0:1]
	s_cbranch_execz .LBB21_1011
; %bb.1010:
	v_add_f32_e32 v3, -2.0, v2
	v_mov_b32_e32 v4, 0x24199b15
	v_fmac_f32_e32 v4, 0xa2a2e5b9, v3
	v_mov_b32_e32 v5, 0x22a2e5b9
	v_fmac_f32_e32 v5, v3, v4
	v_add_f32_e32 v5, 0xa58c275c, v5
	v_fma_f32 v4, v3, v5, -v4
	v_add_f32_e32 v4, 0x26f736c5, v4
	v_fma_f32 v5, v3, v4, -v5
	;; [unrolled: 2-line block ×23, first 2 shown]
	v_mul_f32_e32 v7, 0x3fb8aa3b, v1
	v_add_f32_e32 v4, 0x3d49f456, v4
	s_mov_b32 s16, 0x3fb8aa3b
	v_rndne_f32_e32 v8, v7
	v_fma_f32 v5, v3, v4, -v5
	v_sub_f32_e32 v9, v7, v8
	v_fma_f32 v7, v1, s16, -v7
	v_add_f32_e32 v5, 0xbdc25b82, v5
	v_fmac_f32_e32 v7, 0x32a5705f, v1
	v_fma_f32 v4, v3, v5, -v4
	v_add_f32_e32 v7, v9, v7
	v_add_f32_e32 v4, 0x3e2fbd64, v4
	v_exp_f32_e32 v7, v7
	v_cvt_i32_f32_e32 v8, v8
	v_fma_f32 v5, v3, v4, -v5
	v_add_f32_e32 v5, 0xbe9bff5e, v5
	v_fma_f32 v3, v3, v5, -v4
	s_mov_b32 s16, 0xc2ce8ed0
	v_add_f32_e32 v5, 0x3f2d4275, v3
	v_ldexp_f32 v3, v7, v8
	v_cmp_ngt_f32_e32 vcc, s16, v1
	s_mov_b32 s16, 0x42b17218
	v_cndmask_b32_e32 v3, 0, v3, vcc
	v_mov_b32_e32 v7, 0x7f800000
	v_cmp_nlt_f32_e32 vcc, s16, v1
	v_sub_f32_e32 v4, v5, v4
	v_cndmask_b32_e32 v3, v7, v3, vcc
	v_mul_f32_e32 v4, 0.5, v4
	v_mul_f32_e32 v4, v3, v4
.LBB21_1011:
	s_andn2_saveexec_b64 s[16:17], s[0:1]
	s_cbranch_execz .LBB21_1013
; %bb.1012:
	s_mov_b32 s18, 0x42000000
	v_div_scale_f32 v3, s[0:1], v1, v1, s18
	v_rcp_f32_e32 v4, v3
	v_div_scale_f32 v5, vcc, s18, v1, s18
	s_mov_b32 s0, 0x3fb8aa3b
	v_fma_f32 v7, -v3, v4, 1.0
	v_fmac_f32_e32 v4, v7, v4
	v_mul_f32_e32 v7, v5, v4
	v_fma_f32 v8, -v3, v7, v5
	v_fmac_f32_e32 v7, v8, v4
	v_fma_f32 v3, -v3, v7, v5
	v_div_fmas_f32 v3, v3, v4, v7
	v_div_fixup_f32 v3, v3, v1, s18
	v_add_f32_e32 v3, -2.0, v3
	v_mov_b32_e32 v4, 0xa2b236d3
	v_fmac_f32_e32 v4, 0xa3056dbb, v3
	v_mov_b32_e32 v5, 0x23056dbb
	v_fmac_f32_e32 v5, v3, v4
	v_add_f32_e32 v5, 0x244df0c1, v5
	v_fma_f32 v4, v3, v5, -v4
	v_add_f32_e32 v4, 0x241f9ee8, v4
	v_fma_f32 v5, v3, v4, -v5
	;; [unrolled: 2-line block ×18, first 2 shown]
	v_mul_f32_e32 v7, 0x3fb8aa3b, v1
	v_add_f32_e32 v5, 0x345c003f, v5
	v_rndne_f32_e32 v8, v7
	v_fma_f32 v4, v3, v5, -v4
	v_sub_f32_e32 v9, v7, v8
	v_fma_f32 v7, v1, s0, -v7
	v_add_f32_e32 v4, 0x3642095e, v4
	v_fmac_f32_e32 v7, 0x32a5705f, v1
	v_fma_f32 v5, v3, v4, -v5
	v_add_f32_e32 v7, v9, v7
	v_add_f32_e32 v5, 0x38907d1c, v5
	v_exp_f32_e32 v7, v7
	v_cvt_i32_f32_e32 v8, v8
	v_fma_f32 v4, v3, v5, -v4
	v_add_f32_e32 v4, 0x3b5ccc65, v4
	v_fma_f32 v3, v3, v4, -v5
	s_mov_b32 s0, 0xc2ce8ed0
	v_add_f32_e32 v4, 0x3f4df315, v3
	v_ldexp_f32 v3, v7, v8
	v_cmp_ngt_f32_e32 vcc, s0, v1
	s_mov_b32 s0, 0x42b17218
	v_cndmask_b32_e32 v3, 0, v3, vcc
	v_mov_b32_e32 v7, 0x7f800000
	v_cmp_nlt_f32_e32 vcc, s0, v1
	s_mov_b32 s0, 0xf800000
	v_cndmask_b32_e32 v3, v7, v3, vcc
	v_mul_f32_e32 v7, 0x4f800000, v1
	v_cmp_gt_f32_e32 vcc, s0, v1
	v_cndmask_b32_e32 v7, v1, v7, vcc
	v_sqrt_f32_e32 v8, v7
	v_sub_f32_e32 v4, v4, v5
	v_mul_f32_e32 v4, 0.5, v4
	v_mul_f32_e32 v4, v3, v4
	v_add_u32_e32 v5, -1, v8
	v_fma_f32 v9, -v5, v8, v7
	v_cmp_ge_f32_e64 s[0:1], 0, v9
	v_add_u32_e32 v9, 1, v8
	v_cndmask_b32_e64 v5, v8, v5, s[0:1]
	v_fma_f32 v8, -v9, v8, v7
	v_cmp_lt_f32_e64 s[0:1], 0, v8
	v_cndmask_b32_e64 v5, v5, v9, s[0:1]
	v_mul_f32_e32 v8, 0x37800000, v5
	v_cndmask_b32_e32 v5, v5, v8, vcc
	v_mov_b32_e32 v8, 0x260
	v_cmp_class_f32_e32 vcc, v7, v8
	v_cndmask_b32_e32 v5, v5, v7, vcc
	v_div_scale_f32 v7, s[0:1], v5, v5, v4
	v_rcp_f32_e32 v8, v7
	v_fma_f32 v9, -v7, v8, 1.0
	v_fmac_f32_e32 v8, v9, v8
	v_div_scale_f32 v9, vcc, v4, v5, v4
	v_mul_f32_e32 v10, v9, v8
	v_fma_f32 v11, -v7, v10, v9
	v_fmac_f32_e32 v10, v11, v8
	v_fma_f32 v7, -v7, v10, v9
	v_div_fmas_f32 v7, v7, v8, v10
	v_div_fixup_f32 v4, v7, v5, v4
.LBB21_1013:
	s_or_b64 exec, exec, s[16:17]
	v_fma_f32 v1, v1, v1, -2.0
	v_mov_b32_e32 v5, 0x293fd856
	v_fmac_f32_e32 v5, 0x251e770f, v1
	v_mov_b32_e32 v7, 0xa51e770f
	v_fmac_f32_e32 v7, v1, v5
	v_add_f32_e32 v7, 0x2d3612e2, v7
	v_fma_f32 v5, v1, v7, -v5
	v_add_f32_e32 v5, 0x3102e09b, v5
	v_fma_f32 v7, v1, v5, -v7
	;; [unrolled: 2-line block ×6, first 2 shown]
	v_add_f32_e32 v7, 0x3eb046c4, v7
	s_mov_b32 s0, 0x800000
	v_fma_f32 v1, v1, v7, -v5
	v_mov_b32_e32 v7, 0x4f800000
	v_cmp_gt_f32_e32 vcc, s0, v2
	v_cndmask_b32_e32 v7, 1.0, v7, vcc
	v_mul_f32_e32 v2, v2, v7
	v_log_f32_e32 v2, v2
	v_add_f32_e32 v1, 0xbf090b37, v1
	v_sub_f32_e32 v1, v1, v5
	s_mov_b32 s0, 0x3f317217
	v_mul_f32_e32 v5, 0x3f317217, v2
	v_fma_f32 v7, v2, s0, -v5
	v_fmac_f32_e32 v7, 0x3377d1cf, v2
	s_mov_b32 s0, 0x7f800000
	v_add_f32_e32 v5, v5, v7
	v_cmp_lt_f32_e64 s[0:1], |v2|, s0
	v_cndmask_b32_e64 v2, v2, v5, s[0:1]
	v_mov_b32_e32 v5, 0x41b17218
	v_cndmask_b32_e32 v5, 0, v5, vcc
	v_sub_f32_e32 v2, v2, v5
	v_mul_f32_e32 v2, v2, v4
	v_fma_f32 v1, v1, 0.5, -v2
	v_mul_f32_e32 v2, v3, v1
                                        ; implicit-def: $vgpr1
.LBB21_1014:
	s_andn2_saveexec_b64 s[14:15], s[14:15]
	s_cbranch_execz .LBB21_1016
; %bb.1015:
	s_mov_b32 s16, 0x41000000
	v_div_scale_f32 v2, s[0:1], v1, v1, s16
	v_rcp_f32_e32 v3, v2
	v_div_scale_f32 v4, vcc, s16, v1, s16
	s_mov_b32 s0, 0xf800000
	v_fma_f32 v5, -v2, v3, 1.0
	v_fmac_f32_e32 v3, v5, v3
	v_mul_f32_e32 v5, v4, v3
	v_fma_f32 v7, -v2, v5, v4
	v_fmac_f32_e32 v5, v7, v3
	v_fma_f32 v2, -v2, v5, v4
	v_div_fmas_f32 v2, v2, v3, v5
	v_div_fixup_f32 v2, v2, v1, s16
	v_add_f32_e32 v2, -2.0, v2
	v_mov_b32_e32 v3, 0xa397f665
	v_fmac_f32_e32 v3, 0x22c38d2e, v2
	v_mov_b32_e32 v4, 0xa2c38d2e
	v_fmac_f32_e32 v4, v2, v3
	v_add_f32_e32 v4, 0x24704972, v4
	v_fma_f32 v3, v2, v4, -v3
	v_add_f32_e32 v3, 0xa5417ca4, v3
	v_fma_f32 v4, v2, v3, -v4
	;; [unrolled: 2-line block ×22, first 2 shown]
	v_mul_f32_e32 v3, 0x4f800000, v1
	v_cmp_gt_f32_e32 vcc, s0, v1
	v_cndmask_b32_e32 v1, v1, v3, vcc
	v_sqrt_f32_e32 v3, v1
	v_add_f32_e32 v2, 0x401c2ded, v2
	v_sub_f32_e32 v2, v2, v4
	v_mul_f32_e32 v2, 0.5, v2
	v_add_u32_e32 v4, -1, v3
	v_fma_f32 v5, -v4, v3, v1
	v_cmp_ge_f32_e64 s[0:1], 0, v5
	v_add_u32_e32 v5, 1, v3
	v_cndmask_b32_e64 v4, v3, v4, s[0:1]
	v_fma_f32 v3, -v5, v3, v1
	v_cmp_lt_f32_e64 s[0:1], 0, v3
	v_cndmask_b32_e64 v3, v4, v5, s[0:1]
	v_mul_f32_e32 v4, 0x37800000, v3
	v_cndmask_b32_e32 v3, v3, v4, vcc
	v_mov_b32_e32 v4, 0x260
	v_cmp_class_f32_e32 vcc, v1, v4
	v_cndmask_b32_e32 v1, v3, v1, vcc
	v_div_scale_f32 v3, s[0:1], v1, v1, v2
	v_rcp_f32_e32 v4, v3
	v_fma_f32 v5, -v3, v4, 1.0
	v_fmac_f32_e32 v4, v5, v4
	v_div_scale_f32 v5, vcc, v2, v1, v2
	v_mul_f32_e32 v7, v5, v4
	v_fma_f32 v8, -v3, v7, v5
	v_fmac_f32_e32 v7, v8, v4
	v_fma_f32 v3, -v3, v7, v5
	v_div_fmas_f32 v3, v3, v4, v7
	v_div_fixup_f32 v2, v3, v1, v2
.LBB21_1016:
	s_or_b64 exec, exec, s[14:15]
.LBB21_1017:
	s_or_b64 exec, exec, s[12:13]
.LBB21_1018:
	s_or_b64 exec, exec, s[10:11]
	s_waitcnt lgkmcnt(0)
	v_mov_b32_e32 v1, s25
	v_add_co_u32_e32 v4, vcc, s24, v0
	v_addc_co_u32_e32 v5, vcc, 0, v1, vcc
	v_and_b32_e32 v7, 0xff, v6
	v_cmp_gt_i16_e32 vcc, 11, v7
	s_cbranch_vccnz .LBB21_1038
; %bb.1019:
	v_cmp_lt_i16_e32 vcc, 25, v7
	s_mov_b64 s[12:13], -1
	s_mov_b64 s[0:1], s[52:53]
	s_cbranch_vccz .LBB21_1056
; %bb.1020:
	v_cmp_lt_i16_e32 vcc, 28, v7
	s_mov_b64 s[10:11], -1
	s_mov_b64 s[0:1], s[52:53]
	s_cbranch_vccz .LBB21_1040
; %bb.1021:
	v_cmp_lt_i16_e32 vcc, 43, v7
	s_mov_b64 s[0:1], s[52:53]
	s_cbranch_vccz .LBB21_1032
; %bb.1022:
	v_cmp_lt_i16_e32 vcc, 45, v7
	s_mov_b64 s[0:1], s[52:53]
	s_cbranch_vccz .LBB21_1026
; %bb.1023:
	v_cmp_eq_u16_e32 vcc, 46, v7
	s_mov_b64 s[0:1], -1
	s_cbranch_vccz .LBB21_1025
; %bb.1024:
	v_bfe_u32 v0, v2, 16, 1
	s_movk_i32 s0, 0x7fff
	v_add3_u32 v0, v2, v0, s0
	v_lshrrev_b32_e32 v0, 16, v0
	v_mov_b32_e32 v1, 0x7fc0
	v_cmp_o_f32_e32 vcc, v2, v2
	v_cndmask_b32_e32 v0, v1, v0, vcc
	global_store_dword v[4:5], v0, off
	s_mov_b64 s[0:1], 0
.LBB21_1025:
	s_mov_b64 s[10:11], 0
.LBB21_1026:
	s_and_b64 vcc, exec, s[10:11]
	s_cbranch_vccz .LBB21_1031
; %bb.1027:
	v_cmp_eq_u16_e32 vcc, 44, v7
	s_mov_b64 s[0:1], -1
	s_cbranch_vccz .LBB21_1031
; %bb.1028:
	v_bfe_u32 v0, v2, 23, 8
	s_movk_i32 s0, 0xff
	v_cmp_ne_u32_e32 vcc, s0, v0
	v_mov_b32_e32 v1, 0xff
	s_and_saveexec_b64 s[10:11], vcc
; %bb.1029:
	s_mov_b32 s0, 0x3fffff
	v_and_b32_e32 v3, 0x400000, v2
	v_and_or_b32 v0, v2, s0, v0
	v_cmp_ne_u32_e32 vcc, 0, v3
	v_cmp_ne_u32_e64 s[0:1], 0, v0
	s_and_b64 s[0:1], vcc, s[0:1]
	v_lshrrev_b32_e32 v1, 23, v2
	v_cndmask_b32_e64 v0, 0, 1, s[0:1]
	v_add_u32_e32 v1, v1, v0
; %bb.1030:
	s_or_b64 exec, exec, s[10:11]
	s_mov_b64 s[0:1], 0
	global_store_byte v[4:5], v1, off
.LBB21_1031:
	s_mov_b64 s[10:11], 0
.LBB21_1032:
	s_and_b64 vcc, exec, s[10:11]
	s_cbranch_vccz .LBB21_1039
; %bb.1033:
	v_cmp_eq_u16_e32 vcc, 29, v7
	s_mov_b64 s[0:1], -1
	s_cbranch_vccz .LBB21_1039
; %bb.1034:
	v_trunc_f32_e32 v0, v2
	v_mul_f32_e32 v1, 0x2f800000, v0
	v_floor_f32_e32 v3, v1
	v_fmac_f32_e32 v0, 0xcf800000, v3
	v_cvt_u32_f32_e32 v1, v3
	v_cvt_u32_f32_e32 v0, v0
	s_mov_b64 s[0:1], 0
	s_mov_b64 s[10:11], 0
	global_store_dwordx2 v[4:5], v[0:1], off
	s_branch .LBB21_1040
.LBB21_1035:
	s_or_b64 exec, exec, s[8:9]
	s_and_saveexec_b64 s[0:1], s[52:53]
	s_cbranch_execnz .LBB21_1098
.LBB21_1036:
	s_or_b64 exec, exec, s[0:1]
	s_and_saveexec_b64 s[0:1], s[12:13]
	s_xor_b64 s[0:1], exec, s[0:1]
	s_cbranch_execz .LBB21_1099
.LBB21_1037:
	v_cmp_neq_f32_e32 vcc, 0, v2
	v_cndmask_b32_e64 v0, 0, 1, vcc
	global_store_byte v[4:5], v0, off
	s_or_b64 exec, exec, s[0:1]
	s_and_saveexec_b64 s[0:1], s[10:11]
	s_xor_b64 s[0:1], exec, s[0:1]
	s_cbranch_execz .LBB21_1137
	s_branch .LBB21_1100
.LBB21_1038:
	s_mov_b64 s[12:13], 0
	s_mov_b64 s[10:11], -1
	s_mov_b64 s[0:1], s[52:53]
	s_branch .LBB21_1097
.LBB21_1039:
	s_mov_b64 s[10:11], 0
.LBB21_1040:
	s_and_b64 vcc, exec, s[10:11]
	s_cbranch_vccz .LBB21_1055
; %bb.1041:
	v_cmp_gt_i16_e32 vcc, 27, v7
	s_mov_b64 s[10:11], -1
	s_cbranch_vccnz .LBB21_1047
; %bb.1042:
	v_cmp_lt_i16_e32 vcc, 27, v7
	s_cbranch_vccz .LBB21_1044
; %bb.1043:
	v_cvt_u32_f32_e32 v0, v2
	s_mov_b64 s[10:11], 0
	global_store_dword v[4:5], v0, off
.LBB21_1044:
	s_andn2_b64 vcc, exec, s[10:11]
	s_cbranch_vccnz .LBB21_1046
; %bb.1045:
	v_cvt_u32_f32_e32 v0, v2
	global_store_short v[4:5], v0, off
.LBB21_1046:
	s_mov_b64 s[10:11], 0
.LBB21_1047:
	s_andn2_b64 vcc, exec, s[10:11]
	s_cbranch_vccnz .LBB21_1055
; %bb.1048:
	v_and_b32_e32 v0, 0x7fffffff, v2
	s_mov_b32 s10, 0x43800000
	v_cmp_gt_u32_e32 vcc, s10, v0
	v_mov_b32_e32 v1, 0x80
	s_and_saveexec_b64 s[10:11], vcc
	s_cbranch_execz .LBB21_1054
; %bb.1049:
	s_mov_b32 s12, 0x3bffffff
	v_cmp_lt_u32_e32 vcc, s12, v0
	s_mov_b64 s[12:13], 0
                                        ; implicit-def: $vgpr0
	s_and_saveexec_b64 s[14:15], vcc
	s_xor_b64 s[14:15], exec, s[14:15]
	s_cbranch_execz .LBB21_1208
; %bb.1050:
	v_bfe_u32 v0, v2, 20, 1
	s_mov_b32 s16, 0x487ffff
	v_add3_u32 v0, v2, v0, s16
	s_mov_b64 s[12:13], exec
	v_lshrrev_b32_e32 v0, 20, v0
	s_or_saveexec_b64 s[14:15], s[14:15]
                                        ; implicit-def: $sgpr16
	s_xor_b64 exec, exec, s[14:15]
	s_cbranch_execnz .LBB21_1209
.LBB21_1051:
	s_or_b64 exec, exec, s[14:15]
	v_mov_b32_e32 v1, s16
	s_and_saveexec_b64 s[14:15], s[12:13]
.LBB21_1052:
	v_lshrrev_b32_e32 v1, 24, v2
	s_movk_i32 s12, 0x80
	v_and_or_b32 v1, v1, s12, v0
.LBB21_1053:
	s_or_b64 exec, exec, s[14:15]
.LBB21_1054:
	s_or_b64 exec, exec, s[10:11]
	global_store_byte v[4:5], v1, off
.LBB21_1055:
	s_mov_b64 s[12:13], 0
.LBB21_1056:
	s_mov_b64 s[10:11], 0
	s_and_b64 vcc, exec, s[12:13]
	s_cbranch_vccz .LBB21_1096
; %bb.1057:
	v_cmp_lt_i16_e32 vcc, 22, v7
	s_mov_b64 s[12:13], -1
	s_cbranch_vccz .LBB21_1089
; %bb.1058:
	v_cmp_gt_i16_e32 vcc, 24, v7
	s_cbranch_vccnz .LBB21_1078
; %bb.1059:
	v_cmp_lt_i16_e32 vcc, 24, v7
	s_cbranch_vccz .LBB21_1067
; %bb.1060:
	v_and_b32_e32 v0, 0x7fffffff, v2
	s_mov_b32 s12, 0x47800000
	v_cmp_gt_u32_e32 vcc, s12, v0
	v_mov_b32_e32 v1, 0x80
	s_and_saveexec_b64 s[12:13], vcc
	s_cbranch_execz .LBB21_1066
; %bb.1061:
	s_mov_b32 s14, 0x37ffffff
	v_cmp_lt_u32_e32 vcc, s14, v0
	s_mov_b64 s[14:15], 0
                                        ; implicit-def: $vgpr0
	s_and_saveexec_b64 s[16:17], vcc
	s_xor_b64 s[16:17], exec, s[16:17]
	s_cbranch_execz .LBB21_1345
; %bb.1062:
	v_bfe_u32 v0, v2, 21, 1
	s_mov_b32 s18, 0x88fffff
	v_add3_u32 v0, v2, v0, s18
	s_mov_b64 s[14:15], exec
	v_lshrrev_b32_e32 v0, 21, v0
	s_or_saveexec_b64 s[16:17], s[16:17]
                                        ; implicit-def: $sgpr18
	s_xor_b64 exec, exec, s[16:17]
	s_cbranch_execnz .LBB21_1346
.LBB21_1063:
	s_or_b64 exec, exec, s[16:17]
	v_mov_b32_e32 v1, s18
	s_and_saveexec_b64 s[16:17], s[14:15]
.LBB21_1064:
	v_lshrrev_b32_e32 v1, 24, v2
	s_movk_i32 s14, 0x80
	v_and_or_b32 v1, v1, s14, v0
.LBB21_1065:
	s_or_b64 exec, exec, s[16:17]
.LBB21_1066:
	s_or_b64 exec, exec, s[12:13]
	s_mov_b64 s[12:13], 0
	global_store_byte v[4:5], v1, off
.LBB21_1067:
	s_and_b64 vcc, exec, s[12:13]
	s_cbranch_vccz .LBB21_1077
; %bb.1068:
	v_and_b32_e32 v1, 0x7fffffff, v2
	s_mov_b32 s12, 0x43f00000
	v_cmp_gt_u32_e32 vcc, s12, v1
                                        ; implicit-def: $vgpr0
	s_and_saveexec_b64 s[12:13], vcc
	s_xor_b64 s[12:13], exec, s[12:13]
	s_cbranch_execz .LBB21_1074
; %bb.1069:
	s_mov_b32 s14, 0x3c7fffff
	v_cmp_lt_u32_e32 vcc, s14, v1
                                        ; implicit-def: $vgpr0
	s_and_saveexec_b64 s[14:15], vcc
	s_xor_b64 s[14:15], exec, s[14:15]
; %bb.1070:
	v_bfe_u32 v0, v2, 20, 1
	s_mov_b32 s16, 0x407ffff
	v_add3_u32 v0, v2, v0, s16
	v_lshrrev_b32_e32 v1, 20, v0
	v_and_b32_e32 v0, 0xff00000, v0
	s_mov_b32 s16, 0x7f00000
	v_mov_b32_e32 v3, 0x7e
	v_cmp_ne_u32_e32 vcc, s16, v0
	v_cndmask_b32_e32 v0, v3, v1, vcc
; %bb.1071:
	s_andn2_saveexec_b64 s[14:15], s[14:15]
; %bb.1072:
	s_mov_b32 s16, 0x46800000
	v_add_f32_e64 v0, |v2|, s16
; %bb.1073:
	s_or_b64 exec, exec, s[14:15]
                                        ; implicit-def: $vgpr1
.LBB21_1074:
	s_andn2_saveexec_b64 s[12:13], s[12:13]
; %bb.1075:
	s_mov_b32 s14, 0x7f800000
	v_mov_b32_e32 v0, 0x7e
	v_mov_b32_e32 v3, 0x7f
	v_cmp_lt_u32_e32 vcc, s14, v1
	v_cndmask_b32_e32 v0, v0, v3, vcc
; %bb.1076:
	s_or_b64 exec, exec, s[12:13]
	v_lshrrev_b32_e32 v1, 24, v2
	s_movk_i32 s12, 0x80
	v_and_or_b32 v0, v1, s12, v0
	global_store_byte v[4:5], v0, off
.LBB21_1077:
	s_mov_b64 s[12:13], 0
.LBB21_1078:
	s_andn2_b64 vcc, exec, s[12:13]
	s_cbranch_vccnz .LBB21_1088
; %bb.1079:
	v_and_b32_e32 v1, 0x7fffffff, v2
	s_mov_b32 s12, 0x47800000
	v_cmp_gt_u32_e32 vcc, s12, v1
                                        ; implicit-def: $vgpr0
	s_and_saveexec_b64 s[12:13], vcc
	s_xor_b64 s[12:13], exec, s[12:13]
	s_cbranch_execz .LBB21_1085
; %bb.1080:
	s_mov_b32 s14, 0x387fffff
	v_cmp_lt_u32_e32 vcc, s14, v1
                                        ; implicit-def: $vgpr0
	s_and_saveexec_b64 s[14:15], vcc
	s_xor_b64 s[14:15], exec, s[14:15]
; %bb.1081:
	v_bfe_u32 v0, v2, 21, 1
	s_mov_b32 s16, 0x80fffff
	v_add3_u32 v0, v2, v0, s16
	v_lshrrev_b32_e32 v0, 21, v0
; %bb.1082:
	s_andn2_saveexec_b64 s[14:15], s[14:15]
; %bb.1083:
	s_mov_b32 s16, 0x43000000
	v_add_f32_e64 v0, |v2|, s16
; %bb.1084:
	s_or_b64 exec, exec, s[14:15]
                                        ; implicit-def: $vgpr1
.LBB21_1085:
	s_andn2_saveexec_b64 s[12:13], s[12:13]
; %bb.1086:
	s_mov_b32 s14, 0x7f800000
	v_mov_b32_e32 v0, 0x7c
	v_mov_b32_e32 v3, 0x7f
	v_cmp_lt_u32_e32 vcc, s14, v1
	v_cndmask_b32_e32 v0, v0, v3, vcc
; %bb.1087:
	s_or_b64 exec, exec, s[12:13]
	v_lshrrev_b32_e32 v1, 24, v2
	s_movk_i32 s12, 0x80
	v_and_or_b32 v0, v1, s12, v0
	global_store_byte v[4:5], v0, off
.LBB21_1088:
	s_mov_b64 s[12:13], 0
.LBB21_1089:
	s_andn2_b64 vcc, exec, s[12:13]
	s_mov_b64 s[12:13], 0
	s_cbranch_vccnz .LBB21_1097
; %bb.1090:
	v_cmp_lt_i16_e32 vcc, 14, v7
	s_mov_b64 s[14:15], -1
	s_cbranch_vccz .LBB21_1094
; %bb.1091:
	v_cmp_eq_u16_e32 vcc, 15, v7
	s_mov_b64 s[0:1], -1
	s_cbranch_vccz .LBB21_1093
; %bb.1092:
	v_bfe_u32 v0, v2, 16, 1
	s_movk_i32 s0, 0x7fff
	v_add3_u32 v0, v2, v0, s0
	v_lshrrev_b32_e32 v0, 16, v0
	v_mov_b32_e32 v1, 0x7fc0
	v_cmp_o_f32_e32 vcc, v2, v2
	v_cndmask_b32_e32 v0, v1, v0, vcc
	global_store_short v[4:5], v0, off
	s_mov_b64 s[0:1], 0
.LBB21_1093:
	s_mov_b64 s[14:15], 0
.LBB21_1094:
	s_and_b64 vcc, exec, s[14:15]
	s_cbranch_vccz .LBB21_1097
; %bb.1095:
	v_cmp_ne_u16_e32 vcc, 11, v7
	s_andn2_b64 s[0:1], s[0:1], exec
	s_and_b64 s[14:15], vcc, exec
	s_mov_b64 s[12:13], -1
	s_or_b64 s[0:1], s[0:1], s[14:15]
	s_branch .LBB21_1097
.LBB21_1096:
	s_mov_b64 s[12:13], 0
.LBB21_1097:
	s_andn2_b64 s[14:15], s[52:53], exec
	s_and_b64 s[0:1], s[0:1], exec
	s_and_b64 s[10:11], s[10:11], exec
	;; [unrolled: 1-line block ×3, first 2 shown]
	s_or_b64 s[52:53], s[14:15], s[0:1]
	s_or_b64 exec, exec, s[8:9]
	s_and_saveexec_b64 s[0:1], s[52:53]
	s_cbranch_execz .LBB21_1036
.LBB21_1098:
	s_or_b64 s[2:3], s[2:3], exec
	s_andn2_b64 s[12:13], s[12:13], exec
	s_trap 2
	s_or_b64 exec, exec, s[0:1]
	s_and_saveexec_b64 s[0:1], s[12:13]
	s_xor_b64 s[0:1], exec, s[0:1]
	s_cbranch_execnz .LBB21_1037
.LBB21_1099:
	s_or_b64 exec, exec, s[0:1]
	s_and_saveexec_b64 s[0:1], s[10:11]
	s_xor_b64 s[0:1], exec, s[0:1]
	s_cbranch_execz .LBB21_1137
.LBB21_1100:
	v_cmp_gt_i16_e32 vcc, 5, v7
	s_mov_b64 s[8:9], -1
	s_cbranch_vccnz .LBB21_1121
; %bb.1101:
	v_cmp_gt_i16_e32 vcc, 8, v7
	s_cbranch_vccnz .LBB21_1111
; %bb.1102:
	v_cmp_gt_i16_e32 vcc, 9, v7
	s_cbranch_vccnz .LBB21_1108
; %bb.1103:
	v_cmp_lt_i16_e32 vcc, 9, v7
	s_cbranch_vccz .LBB21_1105
; %bb.1104:
	v_mov_b32_e32 v10, 0
	v_cvt_f64_f32_e32 v[8:9], v2
	v_mov_b32_e32 v11, v10
	s_mov_b64 s[8:9], 0
	global_store_dwordx4 v[4:5], v[8:11], off
.LBB21_1105:
	s_andn2_b64 vcc, exec, s[8:9]
	s_cbranch_vccnz .LBB21_1107
; %bb.1106:
	v_mov_b32_e32 v3, 0
	global_store_dwordx2 v[4:5], v[2:3], off
.LBB21_1107:
	s_mov_b64 s[8:9], 0
.LBB21_1108:
	s_andn2_b64 vcc, exec, s[8:9]
	s_cbranch_vccnz .LBB21_1110
; %bb.1109:
	v_cvt_f16_f32_e32 v0, v2
	global_store_dword v[4:5], v0, off
.LBB21_1110:
	s_mov_b64 s[8:9], 0
.LBB21_1111:
	s_andn2_b64 vcc, exec, s[8:9]
	s_cbranch_vccnz .LBB21_1120
; %bb.1112:
	v_cmp_gt_i16_e32 vcc, 6, v7
	s_mov_b64 s[8:9], -1
	s_cbranch_vccnz .LBB21_1118
; %bb.1113:
	v_cmp_lt_i16_e32 vcc, 6, v7
	s_cbranch_vccz .LBB21_1115
; %bb.1114:
	s_waitcnt vmcnt(0)
	v_cvt_f64_f32_e32 v[0:1], v2
	s_mov_b64 s[8:9], 0
	global_store_dwordx2 v[4:5], v[0:1], off
.LBB21_1115:
	s_andn2_b64 vcc, exec, s[8:9]
	s_cbranch_vccnz .LBB21_1117
; %bb.1116:
	global_store_dword v[4:5], v2, off
.LBB21_1117:
	s_mov_b64 s[8:9], 0
.LBB21_1118:
	s_andn2_b64 vcc, exec, s[8:9]
	s_cbranch_vccnz .LBB21_1120
; %bb.1119:
	v_cvt_f16_f32_e32 v0, v2
	global_store_short v[4:5], v0, off
.LBB21_1120:
	s_mov_b64 s[8:9], 0
.LBB21_1121:
	s_andn2_b64 vcc, exec, s[8:9]
	s_cbranch_vccnz .LBB21_1137
; %bb.1122:
	v_cmp_gt_i16_e32 vcc, 2, v7
	s_mov_b64 s[8:9], -1
	s_cbranch_vccnz .LBB21_1132
; %bb.1123:
	v_cmp_gt_i16_e32 vcc, 3, v7
	s_cbranch_vccnz .LBB21_1129
; %bb.1124:
	v_cmp_lt_i16_e32 vcc, 3, v7
	s_cbranch_vccz .LBB21_1126
; %bb.1125:
	v_trunc_f32_e32 v0, v2
	s_mov_b32 s8, 0x2f800000
	s_waitcnt vmcnt(0)
	v_mul_f32_e64 v1, |v0|, s8
	v_floor_f32_e32 v1, v1
	s_mov_b32 s8, 0xcf800000
	v_cvt_u32_f32_e32 v3, v1
	v_fma_f32 v1, v1, s8, |v0|
	v_cvt_u32_f32_e32 v1, v1
	v_ashrrev_i32_e32 v6, 31, v0
	v_xor_b32_e32 v3, v3, v6
	s_mov_b64 s[8:9], 0
	v_xor_b32_e32 v0, v1, v6
	v_sub_co_u32_e32 v0, vcc, v0, v6
	v_subb_co_u32_e32 v1, vcc, v3, v6, vcc
	global_store_dwordx2 v[4:5], v[0:1], off
.LBB21_1126:
	s_andn2_b64 vcc, exec, s[8:9]
	s_cbranch_vccnz .LBB21_1128
; %bb.1127:
	v_cvt_i32_f32_e32 v0, v2
	global_store_dword v[4:5], v0, off
.LBB21_1128:
	s_mov_b64 s[8:9], 0
.LBB21_1129:
	s_andn2_b64 vcc, exec, s[8:9]
	s_cbranch_vccnz .LBB21_1131
; %bb.1130:
	v_cvt_i32_f32_e32 v0, v2
	global_store_short v[4:5], v0, off
.LBB21_1131:
	s_mov_b64 s[8:9], 0
.LBB21_1132:
	s_andn2_b64 vcc, exec, s[8:9]
	s_cbranch_vccnz .LBB21_1137
; %bb.1133:
	v_cmp_lt_i16_e32 vcc, 0, v7
	s_mov_b64 s[8:9], -1
	s_cbranch_vccz .LBB21_1135
; %bb.1134:
	v_cvt_i32_f32_e32 v0, v2
	s_mov_b64 s[8:9], 0
	global_store_byte v[4:5], v0, off
.LBB21_1135:
	s_andn2_b64 vcc, exec, s[8:9]
	s_cbranch_vccnz .LBB21_1137
; %bb.1136:
	v_trunc_f32_e32 v0, v2
	s_mov_b32 s8, 0x2f800000
	s_waitcnt vmcnt(0)
	v_mul_f32_e64 v1, |v0|, s8
	v_floor_f32_e32 v1, v1
	s_mov_b32 s8, 0xcf800000
	v_fma_f32 v1, v1, s8, |v0|
	v_cvt_u32_f32_e32 v1, v1
	v_ashrrev_i32_e32 v0, 31, v0
	v_xor_b32_e32 v1, v1, v0
	v_sub_u32_e32 v0, v1, v0
	global_store_byte v[4:5], v0, off
.LBB21_1137:
	s_or_b64 exec, exec, s[0:1]
	s_waitcnt lgkmcnt(0)
	s_and_b64 s[28:29], s[2:3], exec
                                        ; implicit-def: $vgpr16
                                        ; implicit-def: $vgpr13
.LBB21_1138:
	s_or_saveexec_b64 s[30:31], s[42:43]
	s_mov_b64 s[0:1], 0
                                        ; implicit-def: $vgpr0_vgpr1
                                        ; implicit-def: $vgpr2
                                        ; implicit-def: $vgpr12
	s_xor_b64 exec, exec, s[30:31]
	s_cbranch_execz .LBB21_1765
; %bb.1139:
	v_cndmask_b32_e64 v0, 0, 1, s[40:41]
	v_cmp_ne_u32_e64 s[0:1], 1, v0
	s_andn2_b64 vcc, exec, s[40:41]
	s_cbranch_vccnz .LBB21_1146
; %bb.1140:
	s_mov_b32 s2, 0
	s_cmp_lg_u32 s33, 0
	v_mov_b32_e32 v8, 0
	v_mov_b32_e32 v6, 0
	s_cbranch_scc0 .LBB21_1145
; %bb.1141:
	s_min_u32 s38, s74, 15
	s_add_i32 s38, s38, 1
	s_cmp_eq_u32 s74, 2
	s_cbranch_scc1 .LBB21_1147
; %bb.1142:
	s_add_u32 s6, s34, 0xc4
	s_addc_u32 s7, s35, 0
	s_and_b32 s2, s38, 28
	s_mov_b32 s3, 0
	v_mov_b32_e32 v6, 0
	s_mov_b64 s[36:37], s[34:35]
	v_mov_b32_e32 v0, v13
	v_mov_b32_e32 v8, 0
.LBB21_1143:                            ; =>This Inner Loop Header: Depth=1
	s_load_dwordx8 s[16:23], s[36:37], 0x4
	s_load_dwordx4 s[24:27], s[36:37], 0x24
	s_load_dwordx8 s[8:15], s[6:7], 0x0
	s_add_u32 s36, s36, 48
	s_addc_u32 s37, s37, 0
	s_waitcnt vmcnt(0) lgkmcnt(0)
	v_mul_hi_u32 v1, s17, v0
	v_add_u32_e32 v1, v0, v1
	v_lshrrev_b32_e32 v1, s18, v1
	v_mul_lo_u32 v2, v1, s16
	v_mul_hi_u32 v3, s20, v1
	v_sub_u32_e32 v0, v0, v2
	v_add_u32_e32 v2, v1, v3
	v_lshrrev_b32_e32 v2, s21, v2
	v_mul_lo_u32 v4, v2, s19
	v_mul_hi_u32 v5, s23, v2
	v_sub_u32_e32 v1, v1, v4
	v_add_u32_e32 v4, v2, v5
	v_mul_lo_u32 v3, v0, s9
	v_mul_lo_u32 v0, v0, s8
	;; [unrolled: 1-line block ×4, first 2 shown]
	v_lshrrev_b32_e32 v4, s24, v4
	v_add3_u32 v1, v0, v6, v1
	v_add3_u32 v3, v3, v8, v5
	v_mul_lo_u32 v0, v4, s22
	v_mul_hi_u32 v5, s26, v4
	v_sub_u32_e32 v0, v2, v0
	v_add_u32_e32 v2, v4, v5
	v_mul_lo_u32 v5, v0, s12
	v_mul_lo_u32 v6, v0, s13
	v_lshrrev_b32_e32 v0, s27, v2
	s_add_i32 s3, s3, 4
	v_mul_lo_u32 v2, v0, s25
	s_add_u32 s6, s6, 32
	v_sub_u32_e32 v2, v4, v2
	s_addc_u32 s7, s7, 0
	v_mul_lo_u32 v4, v2, s14
	v_mul_lo_u32 v2, v2, s15
	s_cmp_lg_u32 s2, s3
	v_add3_u32 v8, v6, v3, v2
	v_add3_u32 v6, v5, v1, v4
	s_cbranch_scc1 .LBB21_1143
; %bb.1144:
	v_mov_b32_e32 v7, v8
	s_and_b32 s8, s38, 3
	s_cmp_eq_u32 s8, 0
	s_cbranch_scc0 .LBB21_1148
.LBB21_1145:
	s_cbranch_execz .LBB21_1151
	s_branch .LBB21_1153
.LBB21_1146:
                                        ; implicit-def: $vgpr8
                                        ; implicit-def: $vgpr6
	s_branch .LBB21_1151
.LBB21_1147:
	s_mov_b32 s3, s2
	v_pk_mov_b32 v[6:7], s[2:3], s[2:3] op_sel:[0,1]
                                        ; implicit-def: $vgpr8
	v_mov_b32_e32 v0, v13
	s_and_b32 s8, s38, 3
	s_cmp_eq_u32 s8, 0
	s_cbranch_scc1 .LBB21_1145
.LBB21_1148:
	s_lshl_b32 s3, s2, 3
	s_add_u32 s3, s3, s34
	s_addc_u32 s7, 0, s35
	s_add_u32 s6, s3, 0xc4
	s_addc_u32 s7, s7, 0
	s_mul_i32 s2, s2, 12
	s_add_u32 s2, s34, s2
	s_addc_u32 s3, 0, s35
.LBB21_1149:                            ; =>This Inner Loop Header: Depth=1
	s_load_dwordx2 s[10:11], s[2:3], 0x4
	s_load_dword s9, s[2:3], 0xc
	s_load_dwordx2 s[12:13], s[6:7], 0x0
	s_add_u32 s2, s2, 12
	s_addc_u32 s3, s3, 0
	s_waitcnt vmcnt(0) lgkmcnt(0)
	v_mul_hi_u32 v1, s11, v0
	v_add_u32_e32 v1, v0, v1
	v_lshrrev_b32_e32 v1, s9, v1
	v_mul_lo_u32 v3, v1, s10
	v_mov_b32_e32 v2, v7
	s_add_u32 s6, s6, 8
	v_sub_u32_e32 v4, v0, v3
	s_addc_u32 s7, s7, 0
	s_add_i32 s8, s8, -1
	v_mad_u64_u32 v[2:3], s[10:11], v4, s13, v[2:3]
	v_mad_u64_u32 v[6:7], s[10:11], v4, s12, v[6:7]
	s_cmp_lg_u32 s8, 0
	v_mov_b32_e32 v0, v1
	v_mov_b32_e32 v7, v2
	s_cbranch_scc1 .LBB21_1149
; %bb.1150:
	v_mov_b32_e32 v8, v7
	s_cbranch_execnz .LBB21_1153
.LBB21_1151:
	s_load_dwordx4 s[8:11], s[34:35], 0x4
	s_load_dwordx2 s[2:3], s[34:35], 0xc4
	s_cmp_lt_u32 s33, 2
	s_waitcnt lgkmcnt(0)
	v_mul_hi_u32 v0, s9, v13
	v_add_u32_e32 v0, v13, v0
	v_lshrrev_b32_e32 v0, s10, v0
	s_waitcnt vmcnt(0)
	v_mul_lo_u32 v1, v0, s8
	v_sub_u32_e32 v1, v13, v1
	v_mul_lo_u32 v8, v1, s3
	v_mul_lo_u32 v6, v1, s2
	s_cbranch_scc1 .LBB21_1153
; %bb.1152:
	s_load_dwordx4 s[8:11], s[34:35], 0x10
	s_load_dwordx2 s[2:3], s[34:35], 0xcc
	s_waitcnt lgkmcnt(0)
	v_mul_hi_u32 v1, s9, v0
	v_add_u32_e32 v1, v0, v1
	v_lshrrev_b32_e32 v1, s10, v1
	v_mul_lo_u32 v1, v1, s8
	v_sub_u32_e32 v0, v0, v1
	v_mad_u64_u32 v[6:7], s[6:7], v0, s2, v[6:7]
	v_mad_u64_u32 v[8:9], s[2:3], v0, s3, v[8:9]
.LBB21_1153:
	s_and_b64 vcc, exec, s[0:1]
	v_add_u32_e32 v0, 0x80, v13
	s_cbranch_vccnz .LBB21_1160
; %bb.1154:
	s_mov_b32 s2, 0
	s_cmp_lg_u32 s33, 0
	v_mov_b32_e32 v10, 0
	v_mov_b32_e32 v4, 0
	s_cbranch_scc0 .LBB21_1159
; %bb.1155:
	s_min_u32 s38, s74, 15
	s_add_i32 s38, s38, 1
	s_cmp_eq_u32 s74, 2
	s_cbranch_scc1 .LBB21_1161
; %bb.1156:
	s_add_u32 s6, s34, 0xc4
	s_addc_u32 s7, s35, 0
	s_and_b32 s2, s38, 28
	s_mov_b32 s3, 0
	v_mov_b32_e32 v4, 0
	s_mov_b64 s[36:37], s[34:35]
	s_waitcnt vmcnt(0)
	v_mov_b32_e32 v1, v0
	v_mov_b32_e32 v10, 0
.LBB21_1157:                            ; =>This Inner Loop Header: Depth=1
	s_load_dwordx8 s[16:23], s[36:37], 0x4
	s_load_dwordx4 s[24:27], s[36:37], 0x24
	s_load_dwordx8 s[8:15], s[6:7], 0x0
	s_add_u32 s36, s36, 48
	s_addc_u32 s37, s37, 0
	s_waitcnt lgkmcnt(0)
	v_mul_hi_u32 v2, s17, v1
	v_add_u32_e32 v2, v1, v2
	v_lshrrev_b32_e32 v2, s18, v2
	v_mul_lo_u32 v3, v2, s16
	v_mul_hi_u32 v5, s20, v2
	v_sub_u32_e32 v1, v1, v3
	v_add_u32_e32 v3, v2, v5
	v_lshrrev_b32_e32 v3, s21, v3
	v_mul_lo_u32 v7, v3, s19
	v_mul_hi_u32 v9, s23, v3
	v_sub_u32_e32 v2, v2, v7
	v_add_u32_e32 v7, v3, v9
	v_mul_lo_u32 v5, v1, s9
	v_mul_lo_u32 v1, v1, s8
	;; [unrolled: 1-line block ×4, first 2 shown]
	v_lshrrev_b32_e32 v7, s24, v7
	v_add3_u32 v2, v1, v4, v2
	v_add3_u32 v4, v5, v10, v9
	v_mul_lo_u32 v1, v7, s22
	v_mul_hi_u32 v5, s26, v7
	v_sub_u32_e32 v1, v3, v1
	v_add_u32_e32 v3, v7, v5
	v_mul_lo_u32 v5, v1, s12
	v_mul_lo_u32 v9, v1, s13
	v_lshrrev_b32_e32 v1, s27, v3
	s_add_i32 s3, s3, 4
	v_mul_lo_u32 v3, v1, s25
	s_add_u32 s6, s6, 32
	v_sub_u32_e32 v3, v7, v3
	s_addc_u32 s7, s7, 0
	v_mul_lo_u32 v7, v3, s14
	v_mul_lo_u32 v3, v3, s15
	s_cmp_lg_u32 s2, s3
	v_add3_u32 v10, v9, v4, v3
	v_add3_u32 v4, v5, v2, v7
	s_cbranch_scc1 .LBB21_1157
; %bb.1158:
	v_mov_b32_e32 v5, v10
	s_and_b32 s8, s38, 3
	s_cmp_eq_u32 s8, 0
	s_cbranch_scc0 .LBB21_1162
.LBB21_1159:
	s_cbranch_execz .LBB21_1165
	s_branch .LBB21_1167
.LBB21_1160:
                                        ; implicit-def: $vgpr10
                                        ; implicit-def: $vgpr4
	s_branch .LBB21_1165
.LBB21_1161:
	s_mov_b32 s3, s2
	v_pk_mov_b32 v[4:5], s[2:3], s[2:3] op_sel:[0,1]
                                        ; implicit-def: $vgpr10
	s_waitcnt vmcnt(0)
	v_mov_b32_e32 v1, v0
	s_and_b32 s8, s38, 3
	s_cmp_eq_u32 s8, 0
	s_cbranch_scc1 .LBB21_1159
.LBB21_1162:
	s_lshl_b32 s3, s2, 3
	s_add_u32 s3, s3, s34
	s_addc_u32 s7, 0, s35
	s_add_u32 s6, s3, 0xc4
	s_addc_u32 s7, s7, 0
	s_mul_i32 s2, s2, 12
	s_add_u32 s2, s34, s2
	s_addc_u32 s3, 0, s35
.LBB21_1163:                            ; =>This Inner Loop Header: Depth=1
	s_load_dwordx2 s[10:11], s[2:3], 0x4
	s_load_dword s9, s[2:3], 0xc
	s_load_dwordx2 s[12:13], s[6:7], 0x0
	s_add_u32 s2, s2, 12
	v_mov_b32_e32 v2, v5
	s_waitcnt lgkmcnt(0)
	v_mul_hi_u32 v3, s11, v1
	v_add_u32_e32 v3, v1, v3
	v_lshrrev_b32_e32 v3, s9, v3
	s_addc_u32 s3, s3, 0
	v_mul_lo_u32 v5, v3, s10
	s_add_u32 s6, s6, 8
	v_sub_u32_e32 v5, v1, v5
	s_addc_u32 s7, s7, 0
	s_add_i32 s8, s8, -1
	v_mov_b32_e32 v1, v3
	v_mad_u64_u32 v[2:3], s[10:11], v5, s13, v[2:3]
	v_mad_u64_u32 v[4:5], s[10:11], v5, s12, v[4:5]
	s_cmp_lg_u32 s8, 0
	v_mov_b32_e32 v5, v2
	s_cbranch_scc1 .LBB21_1163
; %bb.1164:
	v_mov_b32_e32 v10, v5
	s_cbranch_execnz .LBB21_1167
.LBB21_1165:
	s_load_dwordx4 s[8:11], s[34:35], 0x4
	s_load_dwordx2 s[2:3], s[34:35], 0xc4
	s_cmp_lt_u32 s33, 2
	s_waitcnt vmcnt(0) lgkmcnt(0)
	v_mul_hi_u32 v1, s9, v0
	v_add_u32_e32 v1, v0, v1
	v_lshrrev_b32_e32 v1, s10, v1
	v_mul_lo_u32 v2, v1, s8
	v_sub_u32_e32 v0, v0, v2
	v_mul_lo_u32 v10, v0, s3
	v_mul_lo_u32 v4, v0, s2
	s_cbranch_scc1 .LBB21_1167
; %bb.1166:
	s_load_dwordx4 s[8:11], s[34:35], 0x10
	s_load_dwordx2 s[2:3], s[34:35], 0xcc
	s_waitcnt lgkmcnt(0)
	v_mul_hi_u32 v0, s9, v1
	v_add_u32_e32 v0, v1, v0
	v_lshrrev_b32_e32 v0, s10, v0
	v_mul_lo_u32 v0, v0, s8
	v_sub_u32_e32 v0, v1, v0
	v_mad_u64_u32 v[4:5], s[6:7], v0, s2, v[4:5]
	v_mad_u64_u32 v[10:11], s[2:3], v0, s3, v[10:11]
.LBB21_1167:
	s_and_b64 vcc, exec, s[0:1]
	v_add_u32_e32 v0, 0x100, v13
	s_cbranch_vccnz .LBB21_1174
; %bb.1168:
	s_mov_b32 s2, 0
	s_cmp_lg_u32 s33, 0
	v_mov_b32_e32 v14, 0
	v_mov_b32_e32 v2, 0
	s_cbranch_scc0 .LBB21_1173
; %bb.1169:
	s_min_u32 s38, s74, 15
	s_add_i32 s38, s38, 1
	s_cmp_eq_u32 s74, 2
	s_cbranch_scc1 .LBB21_1175
; %bb.1170:
	s_add_u32 s6, s34, 0xc4
	s_addc_u32 s7, s35, 0
	s_and_b32 s2, s38, 28
	s_mov_b32 s3, 0
	v_mov_b32_e32 v2, 0
	s_mov_b64 s[36:37], s[34:35]
	s_waitcnt vmcnt(0)
	v_mov_b32_e32 v1, v0
	v_mov_b32_e32 v14, 0
.LBB21_1171:                            ; =>This Inner Loop Header: Depth=1
	s_load_dwordx8 s[16:23], s[36:37], 0x4
	s_load_dwordx4 s[24:27], s[36:37], 0x24
	s_load_dwordx8 s[8:15], s[6:7], 0x0
	s_add_u32 s36, s36, 48
	s_addc_u32 s37, s37, 0
	s_waitcnt lgkmcnt(0)
	v_mul_hi_u32 v3, s17, v1
	v_add_u32_e32 v3, v1, v3
	v_lshrrev_b32_e32 v3, s18, v3
	v_mul_lo_u32 v5, v3, s16
	v_mul_hi_u32 v7, s20, v3
	v_sub_u32_e32 v1, v1, v5
	v_add_u32_e32 v5, v3, v7
	v_lshrrev_b32_e32 v5, s21, v5
	v_mul_lo_u32 v9, v5, s19
	v_mul_hi_u32 v11, s23, v5
	v_sub_u32_e32 v3, v3, v9
	v_add_u32_e32 v9, v5, v11
	v_mul_lo_u32 v7, v1, s9
	v_mul_lo_u32 v1, v1, s8
	;; [unrolled: 1-line block ×4, first 2 shown]
	v_lshrrev_b32_e32 v9, s24, v9
	v_add3_u32 v2, v1, v2, v3
	v_add3_u32 v3, v7, v14, v11
	v_mul_lo_u32 v1, v9, s22
	v_mul_hi_u32 v7, s26, v9
	v_sub_u32_e32 v1, v5, v1
	v_add_u32_e32 v5, v9, v7
	v_mul_lo_u32 v7, v1, s12
	v_mul_lo_u32 v11, v1, s13
	v_lshrrev_b32_e32 v1, s27, v5
	s_add_i32 s3, s3, 4
	v_mul_lo_u32 v5, v1, s25
	s_add_u32 s6, s6, 32
	v_sub_u32_e32 v5, v9, v5
	s_addc_u32 s7, s7, 0
	v_mul_lo_u32 v9, v5, s14
	v_mul_lo_u32 v5, v5, s15
	s_cmp_lg_u32 s2, s3
	v_add3_u32 v14, v11, v3, v5
	v_add3_u32 v2, v7, v2, v9
	s_cbranch_scc1 .LBB21_1171
; %bb.1172:
	v_mov_b32_e32 v3, v14
	s_and_b32 s8, s38, 3
	s_cmp_eq_u32 s8, 0
	s_cbranch_scc0 .LBB21_1176
.LBB21_1173:
	s_cbranch_execz .LBB21_1179
	s_branch .LBB21_1181
.LBB21_1174:
                                        ; implicit-def: $vgpr14
                                        ; implicit-def: $vgpr2
	s_branch .LBB21_1179
.LBB21_1175:
	s_mov_b32 s3, s2
	v_pk_mov_b32 v[2:3], s[2:3], s[2:3] op_sel:[0,1]
                                        ; implicit-def: $vgpr14
	s_waitcnt vmcnt(0)
	v_mov_b32_e32 v1, v0
	s_and_b32 s8, s38, 3
	s_cmp_eq_u32 s8, 0
	s_cbranch_scc1 .LBB21_1173
.LBB21_1176:
	s_lshl_b32 s3, s2, 3
	s_add_u32 s3, s3, s34
	s_addc_u32 s7, 0, s35
	s_add_u32 s6, s3, 0xc4
	s_addc_u32 s7, s7, 0
	s_mul_i32 s2, s2, 12
	s_add_u32 s2, s34, s2
	s_addc_u32 s3, 0, s35
.LBB21_1177:                            ; =>This Inner Loop Header: Depth=1
	s_load_dwordx2 s[10:11], s[2:3], 0x4
	s_load_dword s9, s[2:3], 0xc
	s_load_dwordx2 s[12:13], s[6:7], 0x0
	v_mov_b32_e32 v12, v3
	s_add_u32 s2, s2, 12
	s_waitcnt lgkmcnt(0)
	v_mul_hi_u32 v3, s11, v1
	v_add_u32_e32 v3, v1, v3
	v_lshrrev_b32_e32 v3, s9, v3
	s_addc_u32 s3, s3, 0
	v_mul_lo_u32 v5, v3, s10
	s_add_u32 s6, s6, 8
	v_sub_u32_e32 v5, v1, v5
	s_addc_u32 s7, s7, 0
	s_add_i32 s8, s8, -1
	v_mov_b32_e32 v1, v3
	v_mad_u64_u32 v[12:13], s[10:11], v5, s13, v[12:13]
	v_mad_u64_u32 v[2:3], s[10:11], v5, s12, v[2:3]
	s_cmp_lg_u32 s8, 0
	v_mov_b32_e32 v3, v12
	s_cbranch_scc1 .LBB21_1177
; %bb.1178:
	v_mov_b32_e32 v14, v3
	s_cbranch_execnz .LBB21_1181
.LBB21_1179:
	s_load_dwordx4 s[8:11], s[34:35], 0x4
	s_load_dwordx2 s[2:3], s[34:35], 0xc4
	s_cmp_lt_u32 s33, 2
	s_waitcnt vmcnt(0) lgkmcnt(0)
	v_mul_hi_u32 v1, s9, v0
	v_add_u32_e32 v1, v0, v1
	v_lshrrev_b32_e32 v1, s10, v1
	v_mul_lo_u32 v2, v1, s8
	v_sub_u32_e32 v0, v0, v2
	v_mul_lo_u32 v14, v0, s3
	v_mul_lo_u32 v2, v0, s2
	s_cbranch_scc1 .LBB21_1181
; %bb.1180:
	s_load_dwordx4 s[8:11], s[34:35], 0x10
	s_load_dwordx2 s[2:3], s[34:35], 0xcc
	s_waitcnt lgkmcnt(0)
	v_mul_hi_u32 v0, s9, v1
	v_add_u32_e32 v0, v1, v0
	v_lshrrev_b32_e32 v0, s10, v0
	v_mul_lo_u32 v0, v0, s8
	v_sub_u32_e32 v0, v1, v0
	v_mad_u64_u32 v[2:3], s[6:7], v0, s2, v[2:3]
	v_mad_u64_u32 v[14:15], s[2:3], v0, s3, v[14:15]
.LBB21_1181:
	s_and_b64 vcc, exec, s[0:1]
	s_cbranch_vccnz .LBB21_1188
; %bb.1182:
	s_mov_b32 s6, 0
	s_cmp_lg_u32 s33, 0
	v_mov_b32_e32 v12, 0
	v_mov_b32_e32 v0, 0
	s_cbranch_scc0 .LBB21_1187
; %bb.1183:
	s_min_u32 s36, s74, 15
	s_add_i32 s36, s36, 1
	s_cmp_eq_u32 s74, 2
	s_cbranch_scc1 .LBB21_1189
; %bb.1184:
	s_add_u32 s24, s34, 0xc4
	s_addc_u32 s25, s35, 0
	s_and_b32 s6, s36, 28
	s_mov_b32 s7, 0
	v_mov_b32_e32 v0, 0
	s_mov_b64 s[26:27], s[34:35]
	v_mov_b32_e32 v3, v16
	v_mov_b32_e32 v12, 0
.LBB21_1185:                            ; =>This Inner Loop Header: Depth=1
	s_load_dwordx8 s[16:23], s[26:27], 0x4
	s_load_dwordx4 s[0:3], s[26:27], 0x24
	s_load_dwordx8 s[8:15], s[24:25], 0x0
	s_add_u32 s26, s26, 48
	s_addc_u32 s27, s27, 0
	s_waitcnt vmcnt(0) lgkmcnt(0)
	v_mul_hi_u32 v1, s17, v3
	v_add_u32_e32 v1, v3, v1
	v_lshrrev_b32_e32 v1, s18, v1
	v_mul_lo_u32 v5, v1, s16
	v_mul_hi_u32 v7, s20, v1
	v_sub_u32_e32 v3, v3, v5
	v_add_u32_e32 v5, v1, v7
	v_lshrrev_b32_e32 v5, s21, v5
	v_mul_lo_u32 v9, v5, s19
	v_mul_hi_u32 v11, s23, v5
	v_sub_u32_e32 v1, v1, v9
	v_add_u32_e32 v9, v5, v11
	v_mul_lo_u32 v7, v3, s9
	v_mul_lo_u32 v3, v3, s8
	;; [unrolled: 1-line block ×4, first 2 shown]
	v_lshrrev_b32_e32 v9, s0, v9
	v_add3_u32 v0, v3, v0, v1
	v_add3_u32 v1, v7, v12, v11
	v_mul_lo_u32 v3, v9, s22
	v_mul_hi_u32 v7, s2, v9
	v_sub_u32_e32 v3, v5, v3
	v_add_u32_e32 v5, v9, v7
	v_mul_lo_u32 v7, v3, s12
	v_mul_lo_u32 v11, v3, s13
	v_lshrrev_b32_e32 v3, s3, v5
	s_add_i32 s7, s7, 4
	v_mul_lo_u32 v5, v3, s1
	s_add_u32 s24, s24, 32
	v_sub_u32_e32 v5, v9, v5
	s_addc_u32 s25, s25, 0
	v_mul_lo_u32 v9, v5, s14
	v_mul_lo_u32 v5, v5, s15
	s_cmp_lg_u32 s6, s7
	v_add3_u32 v12, v11, v1, v5
	v_add3_u32 v0, v7, v0, v9
	s_cbranch_scc1 .LBB21_1185
; %bb.1186:
	v_mov_b32_e32 v1, v12
	s_and_b32 s7, s36, 3
	s_cmp_eq_u32 s7, 0
	s_cbranch_scc0 .LBB21_1190
.LBB21_1187:
	s_cbranch_execz .LBB21_1193
	s_branch .LBB21_1195
.LBB21_1188:
                                        ; implicit-def: $vgpr12
                                        ; implicit-def: $vgpr0
	s_branch .LBB21_1193
.LBB21_1189:
	s_mov_b32 s7, s6
	s_waitcnt vmcnt(0)
	v_pk_mov_b32 v[0:1], s[6:7], s[6:7] op_sel:[0,1]
                                        ; implicit-def: $vgpr12
	v_mov_b32_e32 v3, v16
	s_and_b32 s7, s36, 3
	s_cmp_eq_u32 s7, 0
	s_cbranch_scc1 .LBB21_1187
.LBB21_1190:
	s_lshl_b32 s0, s6, 3
	s_add_u32 s0, s0, s34
	s_addc_u32 s1, 0, s35
	s_add_u32 s0, s0, 0xc4
	s_addc_u32 s1, s1, 0
	s_mul_i32 s2, s6, 12
	s_add_u32 s2, s34, s2
	s_addc_u32 s3, 0, s35
.LBB21_1191:                            ; =>This Inner Loop Header: Depth=1
	s_load_dwordx2 s[8:9], s[2:3], 0x4
	s_load_dword s6, s[2:3], 0xc
	s_load_dwordx2 s[10:11], s[0:1], 0x0
	v_mov_b32_e32 v12, v1
	s_add_u32 s2, s2, 12
	s_waitcnt lgkmcnt(0)
	v_mul_hi_u32 v1, s9, v3
	v_add_u32_e32 v1, v3, v1
	v_lshrrev_b32_e32 v1, s6, v1
	s_addc_u32 s3, s3, 0
	v_mul_lo_u32 v5, v1, s8
	s_add_u32 s0, s0, 8
	v_sub_u32_e32 v5, v3, v5
	s_addc_u32 s1, s1, 0
	s_add_i32 s7, s7, -1
	v_mov_b32_e32 v3, v1
	v_mad_u64_u32 v[12:13], s[8:9], v5, s11, v[12:13]
	v_mad_u64_u32 v[0:1], s[8:9], v5, s10, v[0:1]
	s_cmp_lg_u32 s7, 0
	v_mov_b32_e32 v1, v12
	s_cbranch_scc1 .LBB21_1191
; %bb.1192:
	v_mov_b32_e32 v12, v1
	s_cbranch_execnz .LBB21_1195
.LBB21_1193:
	s_load_dwordx4 s[0:3], s[34:35], 0x4
	s_load_dwordx2 s[6:7], s[34:35], 0xc4
	s_cmp_lt_u32 s33, 2
	s_waitcnt lgkmcnt(0)
	v_mul_hi_u32 v0, s1, v16
	v_add_u32_e32 v0, v16, v0
	s_waitcnt vmcnt(0)
	v_lshrrev_b32_e32 v1, s2, v0
	v_mul_lo_u32 v0, v1, s0
	v_sub_u32_e32 v0, v16, v0
	v_mul_lo_u32 v12, v0, s7
	v_mul_lo_u32 v0, v0, s6
	s_cbranch_scc1 .LBB21_1195
; %bb.1194:
	s_load_dwordx4 s[0:3], s[34:35], 0x10
	s_load_dwordx2 s[6:7], s[34:35], 0xcc
	s_waitcnt lgkmcnt(0)
	v_mul_hi_u32 v3, s1, v1
	v_add_u32_e32 v3, v1, v3
	v_lshrrev_b32_e32 v3, s2, v3
	v_mul_lo_u32 v3, v3, s0
	v_sub_u32_e32 v3, v1, v3
	v_mad_u64_u32 v[0:1], s[0:1], v3, s6, v[0:1]
	v_mad_u64_u32 v[12:13], s[0:1], v3, s7, v[12:13]
.LBB21_1195:
	s_load_dword s16, s[4:5], 0x160
	s_load_dwordx4 s[8:11], s[34:35], 0x148
	s_waitcnt lgkmcnt(0)
	s_lshr_b32 s17, s16, 16
	s_waitcnt vmcnt(0)
	v_mov_b32_e32 v1, s11
	v_add_co_u32_e32 v8, vcc, s10, v8
	v_addc_co_u32_e32 v9, vcc, 0, v1, vcc
	v_mov_b32_e32 v1, 11
	v_cmp_lt_i16_sdwa s[0:1], s17, v1 src0_sel:BYTE_0 src1_sel:DWORD
	s_and_b64 vcc, exec, s[0:1]
	s_cbranch_vccnz .LBB21_1202
; %bb.1196:
	v_mov_b32_e32 v1, 25
	v_cmp_gt_i16_sdwa s[0:1], s17, v1 src0_sel:BYTE_0 src1_sel:DWORD
	s_mov_b64 s[4:5], 0
	s_and_b64 vcc, exec, s[0:1]
	s_cbranch_vccz .LBB21_1204
; %bb.1197:
	v_mov_b32_e32 v1, 28
	v_cmp_gt_i16_sdwa s[0:1], s17, v1 src0_sel:BYTE_0 src1_sel:DWORD
	s_and_b64 vcc, exec, s[0:1]
	s_cbranch_vccz .LBB21_1205
; %bb.1198:
	v_mov_b32_e32 v1, 43
	v_cmp_gt_i16_sdwa s[0:1], s17, v1 src0_sel:BYTE_0 src1_sel:DWORD
	;; [unrolled: 5-line block ×3, first 2 shown]
	s_and_b64 vcc, exec, s[0:1]
	s_cbranch_vccz .LBB21_1207
; %bb.1200:
	v_mov_b32_e32 v1, 46
	v_cmp_eq_u16_sdwa s[0:1], s17, v1 src0_sel:BYTE_0 src1_sel:DWORD
	s_mov_b64 s[2:3], 0
	s_and_b64 vcc, exec, s[0:1]
	s_cbranch_vccz .LBB21_1210
; %bb.1201:
	global_load_dword v1, v[8:9], off
	s_mov_b64 s[0:1], 0
	s_mov_b64 s[6:7], -1
	s_waitcnt vmcnt(0)
	v_lshlrev_b32_e32 v1, 16, v1
	s_branch .LBB21_1211
.LBB21_1202:
	s_mov_b64 s[6:7], 0
                                        ; implicit-def: $vgpr1
	s_mov_b64 s[2:3], s[28:29]
	s_cbranch_execnz .LBB21_1274
.LBB21_1203:
	s_andn2_b64 vcc, exec, s[6:7]
	s_cbranch_vccz .LBB21_1319
	s_branch .LBB21_1762
.LBB21_1204:
	s_mov_b64 s[6:7], 0
	s_mov_b64 s[0:1], 0
                                        ; implicit-def: $vgpr1
	s_cbranch_execnz .LBB21_1239
	s_branch .LBB21_1270
.LBB21_1205:
	s_mov_b64 s[2:3], -1
	s_mov_b64 s[6:7], 0
	s_mov_b64 s[0:1], 0
                                        ; implicit-def: $vgpr1
	s_branch .LBB21_1220
.LBB21_1206:
	s_mov_b64 s[6:7], 0
	s_mov_b64 s[0:1], 0
                                        ; implicit-def: $vgpr1
	s_cbranch_execnz .LBB21_1216
	s_branch .LBB21_1219
.LBB21_1207:
	s_mov_b64 s[2:3], -1
	s_mov_b64 s[6:7], 0
	s_mov_b64 s[0:1], 0
                                        ; implicit-def: $vgpr1
	s_branch .LBB21_1211
.LBB21_1208:
	s_or_saveexec_b64 s[14:15], s[14:15]
                                        ; implicit-def: $sgpr16
	s_xor_b64 exec, exec, s[14:15]
	s_cbranch_execz .LBB21_1051
.LBB21_1209:
	s_mov_b32 s16, 0x46000000
	v_add_f32_e64 v0, |v2|, s16
	v_and_b32_e32 v0, 0xff, v0
	v_cmp_ne_u32_e32 vcc, 0, v0
	s_andn2_b64 s[12:13], s[12:13], exec
	s_and_b64 s[18:19], vcc, exec
	s_mov_b32 s16, 0
	s_or_b64 s[12:13], s[12:13], s[18:19]
	s_or_b64 exec, exec, s[14:15]
	v_mov_b32_e32 v1, s16
	s_and_saveexec_b64 s[14:15], s[12:13]
	s_cbranch_execnz .LBB21_1052
	s_branch .LBB21_1053
.LBB21_1210:
	s_mov_b64 s[0:1], -1
                                        ; implicit-def: $vgpr1
	s_mov_b64 s[6:7], 0
.LBB21_1211:
	s_and_b64 vcc, exec, s[2:3]
	s_cbranch_vccz .LBB21_1214
; %bb.1212:
	v_mov_b32_e32 v1, 44
	v_cmp_eq_u16_sdwa s[0:1], s17, v1 src0_sel:BYTE_0 src1_sel:DWORD
	s_and_b64 vcc, exec, s[0:1]
	s_cbranch_vccz .LBB21_1215
; %bb.1213:
	global_load_ubyte v1, v[8:9], off
	s_movk_i32 s2, 0xff
	v_mov_b32_e32 v3, 0x7f800001
	v_mov_b32_e32 v5, 0x400000
	s_mov_b64 s[0:1], 0
	s_mov_b64 s[6:7], -1
	s_waitcnt vmcnt(0)
	v_lshlrev_b32_e32 v7, 23, v1
	v_cmp_ne_u32_e32 vcc, s2, v1
	v_cndmask_b32_e32 v3, v3, v7, vcc
	v_cmp_ne_u32_e32 vcc, 0, v1
	v_cndmask_b32_e32 v1, v5, v3, vcc
.LBB21_1214:
	s_branch .LBB21_1219
.LBB21_1215:
	s_mov_b64 s[0:1], -1
                                        ; implicit-def: $vgpr1
	s_branch .LBB21_1219
.LBB21_1216:
	v_mov_b32_e32 v1, 29
	v_cmp_eq_u16_sdwa s[0:1], s17, v1 src0_sel:BYTE_0 src1_sel:DWORD
	s_and_b64 vcc, exec, s[0:1]
	s_cbranch_vccz .LBB21_1218
; %bb.1217:
	global_load_dwordx2 v[16:17], v[8:9], off
	s_mov_b64 s[0:1], 0
	s_mov_b64 s[6:7], -1
	s_mov_b64 s[2:3], 0
	s_waitcnt vmcnt(0)
	v_ffbh_u32_e32 v1, v17
	v_min_u32_e32 v1, 32, v1
	v_lshlrev_b64 v[16:17], v1, v[16:17]
	v_min_u32_e32 v3, 1, v16
	v_or_b32_e32 v3, v17, v3
	v_cvt_f32_u32_e32 v3, v3
	v_sub_u32_e32 v1, 32, v1
	v_ldexp_f32 v1, v3, v1
	s_branch .LBB21_1220
.LBB21_1218:
	s_mov_b64 s[0:1], -1
                                        ; implicit-def: $vgpr1
.LBB21_1219:
	s_mov_b64 s[2:3], 0
.LBB21_1220:
	s_and_b64 vcc, exec, s[2:3]
	s_cbranch_vccz .LBB21_1238
; %bb.1221:
	v_mov_b32_e32 v1, 27
	v_cmp_lt_i16_sdwa s[2:3], s17, v1 src0_sel:BYTE_0 src1_sel:DWORD
	s_and_b64 vcc, exec, s[2:3]
	s_cbranch_vccnz .LBB21_1224
; %bb.1222:
	v_cmp_gt_i16_sdwa s[2:3], s17, v1 src0_sel:BYTE_0 src1_sel:DWORD
	s_and_b64 vcc, exec, s[2:3]
	s_cbranch_vccz .LBB21_1225
; %bb.1223:
	global_load_dword v1, v[8:9], off
	s_mov_b64 s[2:3], 0
	s_waitcnt vmcnt(0)
	v_cvt_f32_u32_e32 v1, v1
	s_branch .LBB21_1226
.LBB21_1224:
	s_mov_b64 s[2:3], -1
                                        ; implicit-def: $vgpr1
	s_branch .LBB21_1229
.LBB21_1225:
	s_mov_b64 s[2:3], -1
                                        ; implicit-def: $vgpr1
.LBB21_1226:
	s_andn2_b64 vcc, exec, s[2:3]
	s_cbranch_vccnz .LBB21_1228
; %bb.1227:
	global_load_ushort v1, v[8:9], off
	s_waitcnt vmcnt(0)
	v_cvt_f32_u32_e32 v1, v1
.LBB21_1228:
	s_mov_b64 s[2:3], 0
.LBB21_1229:
	s_andn2_b64 vcc, exec, s[2:3]
	s_cbranch_vccnz .LBB21_1237
; %bb.1230:
	global_load_ubyte v3, v[8:9], off
	s_movk_i32 s2, 0x7f
                                        ; implicit-def: $sgpr14
	s_waitcnt vmcnt(0)
	v_cmp_lt_i16_e32 vcc, s2, v3
	s_mov_b64 s[2:3], 0
	s_and_saveexec_b64 s[6:7], vcc
	s_xor_b64 s[6:7], exec, s[6:7]
	s_cbranch_execz .LBB21_1250
; %bb.1231:
	s_movk_i32 s2, 0x80
	v_cmp_eq_u16_e32 vcc, s2, v3
	s_mov_b64 s[2:3], -1
                                        ; implicit-def: $sgpr14
	s_and_saveexec_b64 s[12:13], vcc
; %bb.1232:
	s_mov_b32 s14, 0x7f800001
	s_xor_b64 s[2:3], exec, -1
; %bb.1233:
	s_or_b64 exec, exec, s[12:13]
	s_and_b64 s[2:3], s[2:3], exec
	s_or_saveexec_b64 s[6:7], s[6:7]
	v_mov_b32_e32 v1, s14
	s_xor_b64 exec, exec, s[6:7]
	s_cbranch_execnz .LBB21_1251
.LBB21_1234:
	s_or_b64 exec, exec, s[6:7]
	s_and_saveexec_b64 s[6:7], s[2:3]
	s_cbranch_execz .LBB21_1236
.LBB21_1235:
	v_lshlrev_b32_e32 v1, 24, v3
	v_and_b32_e32 v3, 0xffff, v3
	v_and_b32_e32 v5, 7, v3
	v_ffbh_u32_e32 v11, v5
	v_min_u32_e32 v11, 32, v11
	v_subrev_u32_e32 v13, 28, v11
	v_bfe_u32 v7, v3, 3, 4
	v_lshlrev_b32_e32 v3, v13, v3
	v_sub_u32_e32 v11, 29, v11
	v_and_b32_e32 v3, 7, v3
	v_cmp_eq_u32_e32 vcc, 0, v7
	v_cndmask_b32_e32 v7, v7, v11, vcc
	v_cndmask_b32_e32 v3, v5, v3, vcc
	v_mov_b32_e32 v5, 0x3b800000
	v_lshlrev_b32_e32 v3, 20, v3
	v_and_b32_e32 v1, 0x80000000, v1
	v_lshl_add_u32 v5, v7, 23, v5
	v_or3_b32 v1, v1, v5, v3
.LBB21_1236:
	s_or_b64 exec, exec, s[6:7]
.LBB21_1237:
	s_mov_b64 s[6:7], -1
.LBB21_1238:
	s_branch .LBB21_1270
.LBB21_1239:
	v_mov_b32_e32 v1, 22
	v_cmp_gt_i16_sdwa s[2:3], s17, v1 src0_sel:BYTE_0 src1_sel:DWORD
	s_and_b64 vcc, exec, s[2:3]
	s_cbranch_vccz .LBB21_1249
; %bb.1240:
	v_mov_b32_e32 v1, 24
	v_cmp_lt_i16_sdwa s[2:3], s17, v1 src0_sel:BYTE_0 src1_sel:DWORD
	s_and_b64 vcc, exec, s[2:3]
	s_cbranch_vccnz .LBB21_1252
; %bb.1241:
	v_cmp_gt_i16_sdwa s[2:3], s17, v1 src0_sel:BYTE_0 src1_sel:DWORD
	s_and_b64 vcc, exec, s[2:3]
	s_cbranch_vccz .LBB21_1253
; %bb.1242:
	global_load_ubyte v3, v[8:9], off
	s_movk_i32 s2, 0x7f
                                        ; implicit-def: $sgpr12
	s_waitcnt vmcnt(0)
	v_cmp_lt_i16_e32 vcc, s2, v3
	s_mov_b64 s[2:3], 0
	s_and_saveexec_b64 s[4:5], vcc
	s_xor_b64 s[4:5], exec, s[4:5]
	s_cbranch_execz .LBB21_1264
; %bb.1243:
	s_movk_i32 s2, 0x80
	v_cmp_eq_u16_e32 vcc, s2, v3
	s_mov_b64 s[2:3], -1
                                        ; implicit-def: $sgpr12
	s_and_saveexec_b64 s[6:7], vcc
; %bb.1244:
	s_mov_b32 s12, 0x7f800001
	s_xor_b64 s[2:3], exec, -1
; %bb.1245:
	s_or_b64 exec, exec, s[6:7]
	s_and_b64 s[2:3], s[2:3], exec
	s_or_saveexec_b64 s[4:5], s[4:5]
	v_mov_b32_e32 v1, s12
	s_xor_b64 exec, exec, s[4:5]
	s_cbranch_execnz .LBB21_1265
.LBB21_1246:
	s_or_b64 exec, exec, s[4:5]
	s_and_saveexec_b64 s[4:5], s[2:3]
	s_cbranch_execz .LBB21_1248
.LBB21_1247:
	v_lshlrev_b32_e32 v1, 24, v3
	v_and_b32_e32 v3, 0xffff, v3
	v_and_b32_e32 v5, 3, v3
	v_ffbh_u32_e32 v11, v5
	v_min_u32_e32 v11, 32, v11
	v_subrev_u32_e32 v13, 29, v11
	v_bfe_u32 v7, v3, 2, 5
	v_lshlrev_b32_e32 v3, v13, v3
	v_sub_u32_e32 v11, 30, v11
	v_and_b32_e32 v3, 3, v3
	v_cmp_eq_u32_e32 vcc, 0, v7
	v_cndmask_b32_e32 v7, v7, v11, vcc
	v_cndmask_b32_e32 v3, v5, v3, vcc
	v_mov_b32_e32 v5, 0x37800000
	v_lshlrev_b32_e32 v3, 21, v3
	v_and_b32_e32 v1, 0x80000000, v1
	v_lshl_add_u32 v5, v7, 23, v5
	v_or3_b32 v1, v1, v5, v3
.LBB21_1248:
	s_or_b64 exec, exec, s[4:5]
	s_mov_b64 s[2:3], 0
	s_branch .LBB21_1254
.LBB21_1249:
                                        ; implicit-def: $vgpr1
	s_mov_b64 s[4:5], 0
	s_branch .LBB21_1260
.LBB21_1250:
	s_or_saveexec_b64 s[6:7], s[6:7]
	v_mov_b32_e32 v1, s14
	s_xor_b64 exec, exec, s[6:7]
	s_cbranch_execz .LBB21_1234
.LBB21_1251:
	v_cmp_ne_u16_e32 vcc, 0, v3
	s_andn2_b64 s[2:3], s[2:3], exec
	s_and_b64 s[12:13], vcc, exec
	v_mov_b32_e32 v1, 0
	s_or_b64 s[2:3], s[2:3], s[12:13]
	s_or_b64 exec, exec, s[6:7]
	s_and_saveexec_b64 s[6:7], s[2:3]
	s_cbranch_execnz .LBB21_1235
	s_branch .LBB21_1236
.LBB21_1252:
	s_mov_b64 s[2:3], -1
                                        ; implicit-def: $vgpr1
	s_branch .LBB21_1257
.LBB21_1253:
	s_mov_b64 s[2:3], -1
                                        ; implicit-def: $vgpr1
.LBB21_1254:
	s_and_b64 vcc, exec, s[2:3]
	s_cbranch_vccz .LBB21_1256
; %bb.1255:
	global_load_ubyte v1, v[8:9], off
	s_mov_b32 s2, 0x7f800000
	s_waitcnt vmcnt(0)
	v_lshlrev_b32_e32 v1, 24, v1
	v_and_b32_e32 v3, 0x7f000000, v1
	v_ffbh_u32_e32 v5, v3
	v_min_u32_e32 v5, 32, v5
	v_sub_u32_e64 v5, v5, 4 clamp
	v_lshlrev_b32_e32 v11, v5, v3
	v_lshlrev_b32_e32 v5, 23, v5
	v_lshrrev_b32_e32 v11, 4, v11
	v_add_u32_e32 v7, 0x1000000, v3
	v_sub_u32_e32 v5, v11, v5
	v_ashrrev_i32_e32 v7, 8, v7
	v_add_u32_e32 v5, 0x3c000000, v5
	v_and_or_b32 v5, v7, s2, v5
	v_cmp_ne_u32_e32 vcc, 0, v3
	v_cndmask_b32_e32 v3, 0, v5, vcc
	s_brev_b32 s2, 1
	v_and_or_b32 v1, v1, s2, v3
.LBB21_1256:
	s_mov_b64 s[2:3], 0
.LBB21_1257:
	s_andn2_b64 vcc, exec, s[2:3]
	s_cbranch_vccnz .LBB21_1259
; %bb.1258:
	global_load_ubyte v1, v[8:9], off
	s_movk_i32 s2, 0x7f00
	s_brev_b32 s3, 16
	s_waitcnt vmcnt(0)
	v_lshlrev_b16_e32 v3, 8, v1
	v_lshlrev_b32_e32 v1, 25, v1
	v_lshrrev_b32_e32 v5, 4, v1
	v_and_or_b32 v7, v3, s2, 0.5
	v_or_b32_e32 v5, 0x70000000, v5
	v_add_f32_e32 v7, -0.5, v7
	v_mul_f32_e32 v5, 0x7800000, v5
	v_cmp_gt_u32_e32 vcc, s3, v1
	v_bfe_i32 v3, v3, 0, 16
	v_cndmask_b32_e32 v1, v5, v7, vcc
	s_brev_b32 s2, 1
	v_and_or_b32 v1, v3, s2, v1
.LBB21_1259:
	s_mov_b64 s[6:7], -1
	s_mov_b64 s[4:5], 0
	s_cbranch_execnz .LBB21_1270
.LBB21_1260:
	v_mov_b32_e32 v1, 14
	v_cmp_gt_i16_sdwa s[2:3], s17, v1 src0_sel:BYTE_0 src1_sel:DWORD
	s_and_b64 vcc, exec, s[2:3]
	s_cbranch_vccz .LBB21_1263
; %bb.1261:
	v_mov_b32_e32 v1, 15
	v_cmp_eq_u16_sdwa s[0:1], s17, v1 src0_sel:BYTE_0 src1_sel:DWORD
	s_and_b64 vcc, exec, s[0:1]
	s_cbranch_vccz .LBB21_1266
; %bb.1262:
	global_load_ushort v1, v[8:9], off
	s_mov_b64 s[0:1], 0
	s_mov_b64 s[6:7], -1
	s_waitcnt vmcnt(0)
	v_lshlrev_b32_e32 v1, 16, v1
	s_branch .LBB21_1267
.LBB21_1263:
	s_mov_b64 s[2:3], -1
                                        ; implicit-def: $vgpr1
	s_branch .LBB21_1268
.LBB21_1264:
	s_or_saveexec_b64 s[4:5], s[4:5]
	v_mov_b32_e32 v1, s12
	s_xor_b64 exec, exec, s[4:5]
	s_cbranch_execz .LBB21_1246
.LBB21_1265:
	v_cmp_ne_u16_e32 vcc, 0, v3
	s_andn2_b64 s[2:3], s[2:3], exec
	s_and_b64 s[6:7], vcc, exec
	v_mov_b32_e32 v1, 0
	s_or_b64 s[2:3], s[2:3], s[6:7]
	s_or_b64 exec, exec, s[4:5]
	s_and_saveexec_b64 s[4:5], s[2:3]
	s_cbranch_execnz .LBB21_1247
	s_branch .LBB21_1248
.LBB21_1266:
	s_mov_b64 s[0:1], -1
                                        ; implicit-def: $vgpr1
.LBB21_1267:
	s_mov_b64 s[2:3], 0
.LBB21_1268:
	s_and_b64 vcc, exec, s[2:3]
	s_cbranch_vccz .LBB21_1270
; %bb.1269:
	v_mov_b32_e32 v1, 11
	v_cmp_ne_u16_sdwa s[0:1], s17, v1 src0_sel:BYTE_0 src1_sel:DWORD
	s_mov_b64 s[4:5], -1
                                        ; implicit-def: $vgpr1
.LBB21_1270:
	s_and_b64 vcc, exec, s[0:1]
	s_mov_b64 s[2:3], s[28:29]
	s_cbranch_vccnz .LBB21_1343
; %bb.1271:
	s_andn2_b64 vcc, exec, s[4:5]
	s_cbranch_vccnz .LBB21_1273
.LBB21_1272:
	global_load_ubyte v1, v[8:9], off
	s_mov_b64 s[6:7], -1
	s_waitcnt vmcnt(0)
	v_cmp_ne_u16_e32 vcc, 0, v1
	v_cndmask_b32_e64 v1, 0, 1.0, vcc
.LBB21_1273:
	s_branch .LBB21_1203
.LBB21_1274:
	v_mov_b32_e32 v1, 5
	v_cmp_lt_i16_sdwa s[0:1], s17, v1 src0_sel:BYTE_0 src1_sel:DWORD
	s_and_b64 vcc, exec, s[0:1]
	s_cbranch_vccnz .LBB21_1279
; %bb.1275:
	v_mov_b32_e32 v1, 8
	v_cmp_lt_i16_sdwa s[0:1], s17, v1 src0_sel:BYTE_0 src1_sel:DWORD
	s_and_b64 vcc, exec, s[0:1]
	s_cbranch_vccnz .LBB21_1280
; %bb.1276:
	;; [unrolled: 5-line block ×3, first 2 shown]
	v_cmp_gt_i16_sdwa s[0:1], s17, v1 src0_sel:BYTE_0 src1_sel:DWORD
	s_and_b64 vcc, exec, s[0:1]
	s_cbranch_vccz .LBB21_1282
; %bb.1278:
	global_load_dwordx2 v[16:17], v[8:9], off
	s_mov_b64 s[0:1], 0
	s_waitcnt vmcnt(0)
	v_cvt_f32_f64_e32 v1, v[16:17]
	s_branch .LBB21_1283
.LBB21_1279:
                                        ; implicit-def: $vgpr1
	s_branch .LBB21_1300
.LBB21_1280:
                                        ; implicit-def: $vgpr1
	s_branch .LBB21_1289
.LBB21_1281:
	s_mov_b64 s[0:1], -1
                                        ; implicit-def: $vgpr1
	s_branch .LBB21_1286
.LBB21_1282:
	s_mov_b64 s[0:1], -1
                                        ; implicit-def: $vgpr1
.LBB21_1283:
	s_andn2_b64 vcc, exec, s[0:1]
	s_cbranch_vccnz .LBB21_1285
; %bb.1284:
	global_load_dword v1, v[8:9], off
.LBB21_1285:
	s_mov_b64 s[0:1], 0
.LBB21_1286:
	s_andn2_b64 vcc, exec, s[0:1]
	s_cbranch_vccnz .LBB21_1288
; %bb.1287:
	global_load_dword v1, v[8:9], off
	s_waitcnt vmcnt(0)
	v_cvt_f32_f16_e32 v1, v1
.LBB21_1288:
	s_cbranch_execnz .LBB21_1299
.LBB21_1289:
	s_waitcnt vmcnt(0)
	v_mov_b32_e32 v1, 6
	v_cmp_lt_i16_sdwa s[0:1], s17, v1 src0_sel:BYTE_0 src1_sel:DWORD
	s_and_b64 vcc, exec, s[0:1]
	s_cbranch_vccnz .LBB21_1292
; %bb.1290:
	v_cmp_gt_i16_sdwa s[0:1], s17, v1 src0_sel:BYTE_0 src1_sel:DWORD
	s_and_b64 vcc, exec, s[0:1]
	s_cbranch_vccz .LBB21_1293
; %bb.1291:
	global_load_dwordx2 v[16:17], v[8:9], off
	s_mov_b64 s[0:1], 0
	s_waitcnt vmcnt(0)
	v_cvt_f32_f64_e32 v1, v[16:17]
	s_branch .LBB21_1294
.LBB21_1292:
	s_mov_b64 s[0:1], -1
                                        ; implicit-def: $vgpr1
	s_branch .LBB21_1297
.LBB21_1293:
	s_mov_b64 s[0:1], -1
                                        ; implicit-def: $vgpr1
.LBB21_1294:
	s_andn2_b64 vcc, exec, s[0:1]
	s_cbranch_vccnz .LBB21_1296
; %bb.1295:
	global_load_dword v1, v[8:9], off
.LBB21_1296:
	s_mov_b64 s[0:1], 0
.LBB21_1297:
	s_andn2_b64 vcc, exec, s[0:1]
	s_cbranch_vccnz .LBB21_1299
; %bb.1298:
	global_load_ushort v1, v[8:9], off
	s_waitcnt vmcnt(0)
	v_cvt_f32_f16_e32 v1, v1
.LBB21_1299:
	s_cbranch_execnz .LBB21_1318
.LBB21_1300:
	s_waitcnt vmcnt(0)
	v_mov_b32_e32 v1, 2
	v_cmp_lt_i16_sdwa s[0:1], s17, v1 src0_sel:BYTE_0 src1_sel:DWORD
	s_and_b64 vcc, exec, s[0:1]
	s_cbranch_vccnz .LBB21_1304
; %bb.1301:
	v_mov_b32_e32 v1, 3
	v_cmp_lt_i16_sdwa s[0:1], s17, v1 src0_sel:BYTE_0 src1_sel:DWORD
	s_and_b64 vcc, exec, s[0:1]
	s_cbranch_vccnz .LBB21_1305
; %bb.1302:
	v_cmp_gt_i16_sdwa s[0:1], s17, v1 src0_sel:BYTE_0 src1_sel:DWORD
	s_and_b64 vcc, exec, s[0:1]
	s_cbranch_vccz .LBB21_1306
; %bb.1303:
	global_load_dwordx2 v[16:17], v[8:9], off
	s_mov_b64 s[0:1], 0
	s_waitcnt vmcnt(0)
	v_xor_b32_e32 v3, v16, v17
	v_ffbh_i32_e32 v1, v17
	v_ashrrev_i32_e32 v3, 31, v3
	v_add_u32_e32 v1, -1, v1
	v_add_u32_e32 v3, 32, v3
	v_min_u32_e32 v1, v1, v3
	v_lshlrev_b64 v[16:17], v1, v[16:17]
	v_min_u32_e32 v3, 1, v16
	v_or_b32_e32 v3, v17, v3
	v_cvt_f32_i32_e32 v3, v3
	v_sub_u32_e32 v1, 32, v1
	v_ldexp_f32 v1, v3, v1
	s_branch .LBB21_1307
.LBB21_1304:
                                        ; implicit-def: $vgpr1
	s_branch .LBB21_1313
.LBB21_1305:
	s_mov_b64 s[0:1], -1
                                        ; implicit-def: $vgpr1
	s_branch .LBB21_1310
.LBB21_1306:
	s_mov_b64 s[0:1], -1
                                        ; implicit-def: $vgpr1
.LBB21_1307:
	s_andn2_b64 vcc, exec, s[0:1]
	s_cbranch_vccnz .LBB21_1309
; %bb.1308:
	global_load_dword v1, v[8:9], off
	s_waitcnt vmcnt(0)
	v_cvt_f32_i32_e32 v1, v1
.LBB21_1309:
	s_mov_b64 s[0:1], 0
.LBB21_1310:
	s_andn2_b64 vcc, exec, s[0:1]
	s_cbranch_vccnz .LBB21_1312
; %bb.1311:
	global_load_sshort v1, v[8:9], off
	s_waitcnt vmcnt(0)
	v_cvt_f32_i32_e32 v1, v1
.LBB21_1312:
	s_cbranch_execnz .LBB21_1318
.LBB21_1313:
	v_mov_b32_e32 v1, 0
	v_cmp_gt_i16_sdwa s[0:1], s17, v1 src0_sel:BYTE_0 src1_sel:DWORD
	s_and_b64 vcc, exec, s[0:1]
	s_cbranch_vccz .LBB21_1315
; %bb.1314:
	global_load_sbyte v1, v[8:9], off
	s_mov_b64 s[0:1], 0
	s_waitcnt vmcnt(0)
	v_cvt_f32_i32_e32 v1, v1
	s_branch .LBB21_1316
.LBB21_1315:
	s_mov_b64 s[0:1], -1
                                        ; implicit-def: $vgpr1
.LBB21_1316:
	s_andn2_b64 vcc, exec, s[0:1]
	s_cbranch_vccnz .LBB21_1318
; %bb.1317:
	global_load_ubyte v1, v[8:9], off
	s_waitcnt vmcnt(0)
	v_cvt_f32_ubyte0_e32 v1, v1
.LBB21_1318:
.LBB21_1319:
	s_waitcnt vmcnt(0)
	v_cmp_neq_f32_e32 vcc, 0, v1
	v_mov_b32_e32 v8, 0x7f800000
	s_and_saveexec_b64 s[4:5], vcc
	s_cbranch_execz .LBB21_1331
; %bb.1320:
	v_cmp_ngt_f32_e32 vcc, 0, v1
	v_mov_b32_e32 v8, 0x7fc00000
	s_and_saveexec_b64 s[6:7], vcc
	s_cbranch_execz .LBB21_1330
; %bb.1321:
	v_cmp_ge_f32_e32 vcc, 2.0, v1
                                        ; implicit-def: $vgpr8
	s_and_saveexec_b64 s[0:1], vcc
	s_xor_b64 s[12:13], exec, s[0:1]
	s_cbranch_execz .LBB21_1327
; %bb.1322:
	s_mov_b32 s0, 0x41000000
	v_mul_f32_e32 v3, 0.5, v1
	v_cmp_ge_f32_e32 vcc, s0, v1
                                        ; implicit-def: $vgpr7
                                        ; implicit-def: $vgpr5
	s_and_saveexec_b64 s[0:1], vcc
	s_xor_b64 s[0:1], exec, s[0:1]
	s_cbranch_execz .LBB21_1324
; %bb.1323:
	v_add_f32_e32 v5, -2.0, v3
	v_mov_b32_e32 v7, 0x24199b15
	v_fmac_f32_e32 v7, 0xa2a2e5b9, v5
	v_mov_b32_e32 v8, 0x22a2e5b9
	v_fmac_f32_e32 v8, v5, v7
	v_add_f32_e32 v8, 0xa58c275c, v8
	v_fma_f32 v7, v5, v8, -v7
	v_add_f32_e32 v7, 0x26f736c5, v7
	v_fma_f32 v8, v5, v7, -v8
	;; [unrolled: 2-line block ×23, first 2 shown]
	v_mul_f32_e32 v9, 0x3fb8aa3b, v1
	v_add_f32_e32 v7, 0x3d49f456, v7
	s_mov_b32 s14, 0x3fb8aa3b
	v_rndne_f32_e32 v11, v9
	v_fma_f32 v8, v5, v7, -v8
	v_sub_f32_e32 v13, v9, v11
	v_fma_f32 v9, v1, s14, -v9
	v_add_f32_e32 v8, 0xbdc25b82, v8
	v_fmac_f32_e32 v9, 0x32a5705f, v1
	v_fma_f32 v7, v5, v8, -v7
	v_add_f32_e32 v9, v13, v9
	v_add_f32_e32 v7, 0x3e2fbd64, v7
	v_exp_f32_e32 v9, v9
	v_cvt_i32_f32_e32 v11, v11
	v_fma_f32 v8, v5, v7, -v8
	v_add_f32_e32 v8, 0xbe9bff5e, v8
	v_fma_f32 v5, v5, v8, -v7
	s_mov_b32 s14, 0xc2ce8ed0
	v_add_f32_e32 v8, 0x3f2d4275, v5
	v_ldexp_f32 v5, v9, v11
	v_cmp_ngt_f32_e32 vcc, s14, v1
	s_mov_b32 s14, 0x42b17218
	v_cndmask_b32_e32 v5, 0, v5, vcc
	v_mov_b32_e32 v9, 0x7f800000
	v_cmp_nlt_f32_e32 vcc, s14, v1
	v_sub_f32_e32 v7, v8, v7
	v_cndmask_b32_e32 v5, v9, v5, vcc
	v_mul_f32_e32 v7, 0.5, v7
	v_mul_f32_e32 v7, v5, v7
.LBB21_1324:
	s_andn2_saveexec_b64 s[14:15], s[0:1]
	s_cbranch_execz .LBB21_1326
; %bb.1325:
	s_mov_b32 s18, 0x42000000
	v_div_scale_f32 v5, s[0:1], v1, v1, s18
	v_rcp_f32_e32 v7, v5
	v_div_scale_f32 v8, vcc, s18, v1, s18
	s_mov_b32 s0, 0x3fb8aa3b
	v_fma_f32 v9, -v5, v7, 1.0
	v_fmac_f32_e32 v7, v9, v7
	v_mul_f32_e32 v9, v8, v7
	v_fma_f32 v11, -v5, v9, v8
	v_fmac_f32_e32 v9, v11, v7
	v_fma_f32 v5, -v5, v9, v8
	v_div_fmas_f32 v5, v5, v7, v9
	v_div_fixup_f32 v5, v5, v1, s18
	v_add_f32_e32 v5, -2.0, v5
	v_mov_b32_e32 v7, 0xa2b236d3
	v_fmac_f32_e32 v7, 0xa3056dbb, v5
	v_mov_b32_e32 v8, 0x23056dbb
	v_fmac_f32_e32 v8, v5, v7
	v_add_f32_e32 v8, 0x244df0c1, v8
	v_fma_f32 v7, v5, v8, -v7
	v_add_f32_e32 v7, 0x241f9ee8, v7
	v_fma_f32 v8, v5, v7, -v8
	;; [unrolled: 2-line block ×18, first 2 shown]
	v_mul_f32_e32 v9, 0x3fb8aa3b, v1
	v_add_f32_e32 v8, 0x345c003f, v8
	v_rndne_f32_e32 v11, v9
	v_fma_f32 v7, v5, v8, -v7
	v_sub_f32_e32 v13, v9, v11
	v_fma_f32 v9, v1, s0, -v9
	v_add_f32_e32 v7, 0x3642095e, v7
	v_fmac_f32_e32 v9, 0x32a5705f, v1
	v_fma_f32 v8, v5, v7, -v8
	v_add_f32_e32 v9, v13, v9
	v_add_f32_e32 v8, 0x38907d1c, v8
	v_exp_f32_e32 v9, v9
	v_cvt_i32_f32_e32 v11, v11
	v_fma_f32 v7, v5, v8, -v7
	v_add_f32_e32 v7, 0x3b5ccc65, v7
	v_fma_f32 v5, v5, v7, -v8
	s_mov_b32 s0, 0xc2ce8ed0
	v_add_f32_e32 v7, 0x3f4df315, v5
	v_ldexp_f32 v5, v9, v11
	v_cmp_ngt_f32_e32 vcc, s0, v1
	s_mov_b32 s0, 0x42b17218
	v_cndmask_b32_e32 v5, 0, v5, vcc
	v_mov_b32_e32 v9, 0x7f800000
	v_cmp_nlt_f32_e32 vcc, s0, v1
	s_mov_b32 s0, 0xf800000
	v_cndmask_b32_e32 v5, v9, v5, vcc
	v_mul_f32_e32 v9, 0x4f800000, v1
	v_cmp_gt_f32_e32 vcc, s0, v1
	v_cndmask_b32_e32 v9, v1, v9, vcc
	v_sqrt_f32_e32 v11, v9
	v_sub_f32_e32 v7, v7, v8
	v_mul_f32_e32 v7, 0.5, v7
	v_mul_f32_e32 v7, v5, v7
	v_add_u32_e32 v8, -1, v11
	v_fma_f32 v13, -v8, v11, v9
	v_cmp_ge_f32_e64 s[0:1], 0, v13
	v_add_u32_e32 v13, 1, v11
	v_cndmask_b32_e64 v8, v11, v8, s[0:1]
	v_fma_f32 v11, -v13, v11, v9
	v_cmp_lt_f32_e64 s[0:1], 0, v11
	v_cndmask_b32_e64 v8, v8, v13, s[0:1]
	v_mul_f32_e32 v11, 0x37800000, v8
	v_cndmask_b32_e32 v8, v8, v11, vcc
	v_mov_b32_e32 v11, 0x260
	v_cmp_class_f32_e32 vcc, v9, v11
	v_cndmask_b32_e32 v8, v8, v9, vcc
	v_div_scale_f32 v9, s[0:1], v8, v8, v7
	v_rcp_f32_e32 v11, v9
	v_fma_f32 v13, -v9, v11, 1.0
	v_fmac_f32_e32 v11, v13, v11
	v_div_scale_f32 v13, vcc, v7, v8, v7
	v_mul_f32_e32 v15, v13, v11
	v_fma_f32 v16, -v9, v15, v13
	v_fmac_f32_e32 v15, v16, v11
	v_fma_f32 v9, -v9, v15, v13
	v_div_fmas_f32 v9, v9, v11, v15
	v_div_fixup_f32 v7, v9, v8, v7
.LBB21_1326:
	s_or_b64 exec, exec, s[14:15]
	v_fma_f32 v1, v1, v1, -2.0
	v_mov_b32_e32 v8, 0x293fd856
	v_fmac_f32_e32 v8, 0x251e770f, v1
	v_mov_b32_e32 v9, 0xa51e770f
	v_fmac_f32_e32 v9, v1, v8
	v_add_f32_e32 v9, 0x2d3612e2, v9
	v_fma_f32 v8, v1, v9, -v8
	v_add_f32_e32 v8, 0x3102e09b, v8
	v_fma_f32 v9, v1, v8, -v9
	;; [unrolled: 2-line block ×6, first 2 shown]
	v_add_f32_e32 v9, 0x3eb046c4, v9
	s_mov_b32 s0, 0x800000
	v_fma_f32 v1, v1, v9, -v8
	v_mov_b32_e32 v9, 0x4f800000
	v_cmp_gt_f32_e32 vcc, s0, v3
	v_cndmask_b32_e32 v9, 1.0, v9, vcc
	v_mul_f32_e32 v3, v3, v9
	v_log_f32_e32 v3, v3
	v_add_f32_e32 v1, 0xbf090b37, v1
	v_sub_f32_e32 v1, v1, v8
	s_mov_b32 s0, 0x3f317217
	v_mul_f32_e32 v8, 0x3f317217, v3
	v_fma_f32 v9, v3, s0, -v8
	v_fmac_f32_e32 v9, 0x3377d1cf, v3
	s_mov_b32 s0, 0x7f800000
	v_add_f32_e32 v8, v8, v9
	v_cmp_lt_f32_e64 s[0:1], |v3|, s0
	v_cndmask_b32_e64 v3, v3, v8, s[0:1]
	v_mov_b32_e32 v8, 0x41b17218
	v_cndmask_b32_e32 v8, 0, v8, vcc
	v_sub_f32_e32 v3, v3, v8
	v_mul_f32_e32 v3, v3, v7
	v_fma_f32 v1, v1, 0.5, -v3
	v_mul_f32_e32 v8, v5, v1
                                        ; implicit-def: $vgpr1
.LBB21_1327:
	s_andn2_saveexec_b64 s[12:13], s[12:13]
	s_cbranch_execz .LBB21_1329
; %bb.1328:
	s_mov_b32 s14, 0x41000000
	v_div_scale_f32 v3, s[0:1], v1, v1, s14
	v_rcp_f32_e32 v5, v3
	v_div_scale_f32 v7, vcc, s14, v1, s14
	s_mov_b32 s0, 0xf800000
	v_fma_f32 v8, -v3, v5, 1.0
	v_fmac_f32_e32 v5, v8, v5
	v_mul_f32_e32 v8, v7, v5
	v_fma_f32 v9, -v3, v8, v7
	v_fmac_f32_e32 v8, v9, v5
	v_fma_f32 v3, -v3, v8, v7
	v_div_fmas_f32 v3, v3, v5, v8
	v_div_fixup_f32 v3, v3, v1, s14
	v_add_f32_e32 v3, -2.0, v3
	v_mov_b32_e32 v5, 0xa397f665
	v_fmac_f32_e32 v5, 0x22c38d2e, v3
	v_mov_b32_e32 v7, 0xa2c38d2e
	v_fmac_f32_e32 v7, v3, v5
	v_add_f32_e32 v7, 0x24704972, v7
	v_fma_f32 v5, v3, v7, -v5
	v_add_f32_e32 v5, 0xa5417ca4, v5
	v_fma_f32 v7, v3, v5, -v7
	;; [unrolled: 2-line block ×22, first 2 shown]
	v_mul_f32_e32 v5, 0x4f800000, v1
	v_cmp_gt_f32_e32 vcc, s0, v1
	v_cndmask_b32_e32 v1, v1, v5, vcc
	v_sqrt_f32_e32 v5, v1
	v_add_f32_e32 v3, 0x401c2ded, v3
	v_sub_f32_e32 v3, v3, v7
	v_mul_f32_e32 v3, 0.5, v3
	v_add_u32_e32 v7, -1, v5
	v_fma_f32 v8, -v7, v5, v1
	v_cmp_ge_f32_e64 s[0:1], 0, v8
	v_add_u32_e32 v8, 1, v5
	v_cndmask_b32_e64 v7, v5, v7, s[0:1]
	v_fma_f32 v5, -v8, v5, v1
	v_cmp_lt_f32_e64 s[0:1], 0, v5
	v_cndmask_b32_e64 v5, v7, v8, s[0:1]
	v_mul_f32_e32 v7, 0x37800000, v5
	v_cndmask_b32_e32 v5, v5, v7, vcc
	v_mov_b32_e32 v7, 0x260
	v_cmp_class_f32_e32 vcc, v1, v7
	v_cndmask_b32_e32 v1, v5, v1, vcc
	v_div_scale_f32 v5, s[0:1], v1, v1, v3
	v_rcp_f32_e32 v7, v5
	v_fma_f32 v8, -v5, v7, 1.0
	v_fmac_f32_e32 v7, v8, v7
	v_div_scale_f32 v8, vcc, v3, v1, v3
	v_mul_f32_e32 v9, v8, v7
	v_fma_f32 v11, -v5, v9, v8
	v_fmac_f32_e32 v9, v11, v7
	v_fma_f32 v5, -v5, v9, v8
	v_div_fmas_f32 v5, v5, v7, v9
	v_div_fixup_f32 v8, v5, v1, v3
.LBB21_1329:
	s_or_b64 exec, exec, s[12:13]
.LBB21_1330:
	s_or_b64 exec, exec, s[6:7]
.LBB21_1331:
	s_or_b64 exec, exec, s[4:5]
	v_mov_b32_e32 v1, s11
	v_add_co_u32_e32 v10, vcc, s10, v10
	v_addc_co_u32_e32 v11, vcc, 0, v1, vcc
	v_mov_b32_e32 v1, 11
	v_cmp_lt_i16_sdwa s[0:1], s17, v1 src0_sel:BYTE_0 src1_sel:DWORD
	s_and_b64 vcc, exec, s[0:1]
	s_cbranch_vccnz .LBB21_1338
; %bb.1332:
	v_mov_b32_e32 v1, 25
	v_cmp_gt_i16_sdwa s[0:1], s17, v1 src0_sel:BYTE_0 src1_sel:DWORD
	s_mov_b64 s[4:5], 0
	s_and_b64 vcc, exec, s[0:1]
	s_cbranch_vccz .LBB21_1340
; %bb.1333:
	v_mov_b32_e32 v1, 28
	v_cmp_gt_i16_sdwa s[0:1], s17, v1 src0_sel:BYTE_0 src1_sel:DWORD
	s_and_b64 vcc, exec, s[0:1]
	s_cbranch_vccz .LBB21_1341
; %bb.1334:
	v_mov_b32_e32 v1, 43
	v_cmp_gt_i16_sdwa s[0:1], s17, v1 src0_sel:BYTE_0 src1_sel:DWORD
	;; [unrolled: 5-line block ×3, first 2 shown]
	s_and_b64 vcc, exec, s[0:1]
	s_cbranch_vccz .LBB21_1344
; %bb.1336:
	v_mov_b32_e32 v1, 46
	v_cmp_eq_u16_sdwa s[0:1], s17, v1 src0_sel:BYTE_0 src1_sel:DWORD
	s_mov_b64 s[12:13], 0
	s_and_b64 vcc, exec, s[0:1]
	s_cbranch_vccz .LBB21_1347
; %bb.1337:
	global_load_dword v1, v[10:11], off
	s_mov_b64 s[0:1], 0
	s_mov_b64 s[6:7], -1
	s_waitcnt vmcnt(0)
	v_lshlrev_b32_e32 v1, 16, v1
	s_branch .LBB21_1348
.LBB21_1338:
	s_mov_b64 s[6:7], 0
                                        ; implicit-def: $vgpr1
	s_cbranch_execnz .LBB21_1413
.LBB21_1339:
	s_andn2_b64 vcc, exec, s[6:7]
	s_cbranch_vccnz .LBB21_1762
	s_branch .LBB21_1460
.LBB21_1340:
	s_mov_b64 s[6:7], 0
	s_mov_b64 s[0:1], 0
                                        ; implicit-def: $vgpr1
	s_cbranch_execnz .LBB21_1377
	s_branch .LBB21_1409
.LBB21_1341:
	s_mov_b64 s[12:13], -1
	s_mov_b64 s[6:7], 0
	s_mov_b64 s[0:1], 0
                                        ; implicit-def: $vgpr1
	s_branch .LBB21_1358
.LBB21_1342:
	s_mov_b64 s[12:13], -1
	s_mov_b64 s[6:7], 0
	s_mov_b64 s[0:1], 0
                                        ; implicit-def: $vgpr1
	s_branch .LBB21_1353
.LBB21_1343:
	s_or_b64 s[2:3], s[28:29], exec
	s_trap 2
                                        ; implicit-def: $vgpr1
	s_cbranch_execz .LBB21_1272
	s_branch .LBB21_1273
.LBB21_1344:
	s_mov_b64 s[12:13], -1
	s_mov_b64 s[6:7], 0
	s_mov_b64 s[0:1], 0
                                        ; implicit-def: $vgpr1
	s_branch .LBB21_1348
.LBB21_1345:
	s_or_saveexec_b64 s[16:17], s[16:17]
                                        ; implicit-def: $sgpr18
	s_xor_b64 exec, exec, s[16:17]
	s_cbranch_execz .LBB21_1063
.LBB21_1346:
	s_mov_b32 s18, 0x42800000
	v_add_f32_e64 v0, |v2|, s18
	v_and_b32_e32 v0, 0xff, v0
	v_cmp_ne_u32_e32 vcc, 0, v0
	s_andn2_b64 s[14:15], s[14:15], exec
	s_and_b64 s[20:21], vcc, exec
	s_mov_b32 s18, 0
	s_or_b64 s[14:15], s[14:15], s[20:21]
	s_or_b64 exec, exec, s[16:17]
	v_mov_b32_e32 v1, s18
	s_and_saveexec_b64 s[16:17], s[14:15]
	s_cbranch_execnz .LBB21_1064
	s_branch .LBB21_1065
.LBB21_1347:
	s_mov_b64 s[0:1], -1
                                        ; implicit-def: $vgpr1
	s_mov_b64 s[6:7], 0
.LBB21_1348:
	s_and_b64 vcc, exec, s[12:13]
	s_cbranch_vccz .LBB21_1352
; %bb.1349:
	v_mov_b32_e32 v1, 44
	v_cmp_eq_u16_sdwa s[0:1], s17, v1 src0_sel:BYTE_0 src1_sel:DWORD
	s_and_b64 vcc, exec, s[0:1]
	s_cbranch_vccz .LBB21_1351
; %bb.1350:
	global_load_ubyte v1, v[10:11], off
	s_movk_i32 s6, 0xff
	v_mov_b32_e32 v3, 0x7f800001
	v_mov_b32_e32 v5, 0x400000
	s_mov_b64 s[0:1], 0
	s_waitcnt vmcnt(0)
	v_lshlrev_b32_e32 v7, 23, v1
	v_cmp_ne_u32_e32 vcc, s6, v1
	v_cndmask_b32_e32 v3, v3, v7, vcc
	v_cmp_ne_u32_e32 vcc, 0, v1
	v_cndmask_b32_e32 v1, v5, v3, vcc
	s_mov_b64 s[6:7], -1
	s_branch .LBB21_1352
.LBB21_1351:
	s_mov_b64 s[0:1], -1
                                        ; implicit-def: $vgpr1
.LBB21_1352:
	s_mov_b64 s[12:13], 0
.LBB21_1353:
	s_and_b64 vcc, exec, s[12:13]
	s_cbranch_vccz .LBB21_1357
; %bb.1354:
	v_mov_b32_e32 v1, 29
	v_cmp_eq_u16_sdwa s[0:1], s17, v1 src0_sel:BYTE_0 src1_sel:DWORD
	s_and_b64 vcc, exec, s[0:1]
	s_cbranch_vccz .LBB21_1356
; %bb.1355:
	global_load_dwordx2 v[16:17], v[10:11], off
	s_mov_b64 s[0:1], 0
	s_mov_b64 s[6:7], -1
	s_mov_b64 s[12:13], 0
	s_waitcnt vmcnt(0)
	v_ffbh_u32_e32 v1, v17
	v_min_u32_e32 v1, 32, v1
	v_lshlrev_b64 v[16:17], v1, v[16:17]
	v_min_u32_e32 v3, 1, v16
	v_or_b32_e32 v3, v17, v3
	v_cvt_f32_u32_e32 v3, v3
	v_sub_u32_e32 v1, 32, v1
	v_ldexp_f32 v1, v3, v1
	s_branch .LBB21_1358
.LBB21_1356:
	s_mov_b64 s[0:1], -1
                                        ; implicit-def: $vgpr1
.LBB21_1357:
	s_mov_b64 s[12:13], 0
.LBB21_1358:
	s_and_b64 vcc, exec, s[12:13]
	s_cbranch_vccz .LBB21_1376
; %bb.1359:
	v_mov_b32_e32 v1, 27
	v_cmp_lt_i16_sdwa s[6:7], s17, v1 src0_sel:BYTE_0 src1_sel:DWORD
	s_and_b64 vcc, exec, s[6:7]
	s_cbranch_vccnz .LBB21_1362
; %bb.1360:
	v_cmp_gt_i16_sdwa s[6:7], s17, v1 src0_sel:BYTE_0 src1_sel:DWORD
	s_and_b64 vcc, exec, s[6:7]
	s_cbranch_vccz .LBB21_1363
; %bb.1361:
	global_load_dword v1, v[10:11], off
	s_mov_b64 s[6:7], 0
	s_waitcnt vmcnt(0)
	v_cvt_f32_u32_e32 v1, v1
	s_branch .LBB21_1364
.LBB21_1362:
	s_mov_b64 s[6:7], -1
                                        ; implicit-def: $vgpr1
	s_branch .LBB21_1367
.LBB21_1363:
	s_mov_b64 s[6:7], -1
                                        ; implicit-def: $vgpr1
.LBB21_1364:
	s_andn2_b64 vcc, exec, s[6:7]
	s_cbranch_vccnz .LBB21_1366
; %bb.1365:
	global_load_ushort v1, v[10:11], off
	s_waitcnt vmcnt(0)
	v_cvt_f32_u32_e32 v1, v1
.LBB21_1366:
	s_mov_b64 s[6:7], 0
.LBB21_1367:
	s_andn2_b64 vcc, exec, s[6:7]
	s_cbranch_vccnz .LBB21_1375
; %bb.1368:
	global_load_ubyte v3, v[10:11], off
	s_movk_i32 s6, 0x7f
                                        ; implicit-def: $sgpr18
	s_waitcnt vmcnt(0)
	v_cmp_lt_i16_e32 vcc, s6, v3
	s_mov_b64 s[6:7], 0
	s_and_saveexec_b64 s[12:13], vcc
	s_xor_b64 s[12:13], exec, s[12:13]
	s_cbranch_execz .LBB21_1388
; %bb.1369:
	s_movk_i32 s6, 0x80
	v_cmp_eq_u16_e32 vcc, s6, v3
	s_mov_b64 s[6:7], -1
                                        ; implicit-def: $sgpr18
	s_and_saveexec_b64 s[14:15], vcc
; %bb.1370:
	s_mov_b32 s18, 0x7f800001
	s_xor_b64 s[6:7], exec, -1
; %bb.1371:
	s_or_b64 exec, exec, s[14:15]
	s_and_b64 s[6:7], s[6:7], exec
	s_or_saveexec_b64 s[12:13], s[12:13]
	v_mov_b32_e32 v1, s18
	s_xor_b64 exec, exec, s[12:13]
	s_cbranch_execnz .LBB21_1389
.LBB21_1372:
	s_or_b64 exec, exec, s[12:13]
	s_and_saveexec_b64 s[12:13], s[6:7]
	s_cbranch_execz .LBB21_1374
.LBB21_1373:
	v_lshlrev_b32_e32 v1, 24, v3
	v_and_b32_e32 v3, 0xffff, v3
	v_and_b32_e32 v5, 7, v3
	v_ffbh_u32_e32 v9, v5
	v_min_u32_e32 v9, 32, v9
	v_subrev_u32_e32 v13, 28, v9
	v_bfe_u32 v7, v3, 3, 4
	v_lshlrev_b32_e32 v3, v13, v3
	v_sub_u32_e32 v9, 29, v9
	v_and_b32_e32 v3, 7, v3
	v_cmp_eq_u32_e32 vcc, 0, v7
	v_cndmask_b32_e32 v7, v7, v9, vcc
	v_cndmask_b32_e32 v3, v5, v3, vcc
	v_mov_b32_e32 v5, 0x3b800000
	v_lshlrev_b32_e32 v3, 20, v3
	v_and_b32_e32 v1, 0x80000000, v1
	v_lshl_add_u32 v5, v7, 23, v5
	v_or3_b32 v1, v1, v5, v3
.LBB21_1374:
	s_or_b64 exec, exec, s[12:13]
.LBB21_1375:
	s_mov_b64 s[6:7], -1
.LBB21_1376:
	s_branch .LBB21_1409
.LBB21_1377:
	v_mov_b32_e32 v1, 22
	v_cmp_gt_i16_sdwa s[4:5], s17, v1 src0_sel:BYTE_0 src1_sel:DWORD
	s_and_b64 vcc, exec, s[4:5]
	s_cbranch_vccz .LBB21_1387
; %bb.1378:
	v_mov_b32_e32 v1, 24
	v_cmp_lt_i16_sdwa s[4:5], s17, v1 src0_sel:BYTE_0 src1_sel:DWORD
	s_and_b64 vcc, exec, s[4:5]
	s_cbranch_vccnz .LBB21_1390
; %bb.1379:
	v_cmp_gt_i16_sdwa s[4:5], s17, v1 src0_sel:BYTE_0 src1_sel:DWORD
	s_and_b64 vcc, exec, s[4:5]
	s_cbranch_vccz .LBB21_1391
; %bb.1380:
	global_load_ubyte v3, v[10:11], off
	s_movk_i32 s4, 0x7f
                                        ; implicit-def: $sgpr14
	s_waitcnt vmcnt(0)
	v_cmp_lt_i16_e32 vcc, s4, v3
	s_mov_b64 s[4:5], 0
	s_and_saveexec_b64 s[6:7], vcc
	s_xor_b64 s[6:7], exec, s[6:7]
	s_cbranch_execz .LBB21_1403
; %bb.1381:
	s_movk_i32 s4, 0x80
	v_cmp_eq_u16_e32 vcc, s4, v3
	s_mov_b64 s[4:5], -1
                                        ; implicit-def: $sgpr14
	s_and_saveexec_b64 s[12:13], vcc
; %bb.1382:
	s_mov_b32 s14, 0x7f800001
	s_xor_b64 s[4:5], exec, -1
; %bb.1383:
	s_or_b64 exec, exec, s[12:13]
	s_and_b64 s[4:5], s[4:5], exec
	s_or_saveexec_b64 s[6:7], s[6:7]
	v_mov_b32_e32 v1, s14
	s_xor_b64 exec, exec, s[6:7]
	s_cbranch_execnz .LBB21_1404
.LBB21_1384:
	s_or_b64 exec, exec, s[6:7]
	s_and_saveexec_b64 s[6:7], s[4:5]
	s_cbranch_execz .LBB21_1386
.LBB21_1385:
	v_lshlrev_b32_e32 v1, 24, v3
	v_and_b32_e32 v3, 0xffff, v3
	v_and_b32_e32 v5, 3, v3
	v_ffbh_u32_e32 v9, v5
	v_min_u32_e32 v9, 32, v9
	v_subrev_u32_e32 v13, 29, v9
	v_bfe_u32 v7, v3, 2, 5
	v_lshlrev_b32_e32 v3, v13, v3
	v_sub_u32_e32 v9, 30, v9
	v_and_b32_e32 v3, 3, v3
	v_cmp_eq_u32_e32 vcc, 0, v7
	v_cndmask_b32_e32 v7, v7, v9, vcc
	v_cndmask_b32_e32 v3, v5, v3, vcc
	v_mov_b32_e32 v5, 0x37800000
	v_lshlrev_b32_e32 v3, 21, v3
	v_and_b32_e32 v1, 0x80000000, v1
	v_lshl_add_u32 v5, v7, 23, v5
	v_or3_b32 v1, v1, v5, v3
.LBB21_1386:
	s_or_b64 exec, exec, s[6:7]
	s_mov_b64 s[4:5], 0
	s_branch .LBB21_1392
.LBB21_1387:
	s_mov_b64 s[4:5], -1
                                        ; implicit-def: $vgpr1
	s_branch .LBB21_1398
.LBB21_1388:
	s_or_saveexec_b64 s[12:13], s[12:13]
	v_mov_b32_e32 v1, s18
	s_xor_b64 exec, exec, s[12:13]
	s_cbranch_execz .LBB21_1372
.LBB21_1389:
	v_cmp_ne_u16_e32 vcc, 0, v3
	s_andn2_b64 s[6:7], s[6:7], exec
	s_and_b64 s[14:15], vcc, exec
	v_mov_b32_e32 v1, 0
	s_or_b64 s[6:7], s[6:7], s[14:15]
	s_or_b64 exec, exec, s[12:13]
	s_and_saveexec_b64 s[12:13], s[6:7]
	s_cbranch_execnz .LBB21_1373
	s_branch .LBB21_1374
.LBB21_1390:
	s_mov_b64 s[4:5], -1
                                        ; implicit-def: $vgpr1
	s_branch .LBB21_1395
.LBB21_1391:
	s_mov_b64 s[4:5], -1
                                        ; implicit-def: $vgpr1
.LBB21_1392:
	s_and_b64 vcc, exec, s[4:5]
	s_cbranch_vccz .LBB21_1394
; %bb.1393:
	global_load_ubyte v1, v[10:11], off
	s_mov_b32 s4, 0x7f800000
	s_waitcnt vmcnt(0)
	v_lshlrev_b32_e32 v1, 24, v1
	v_and_b32_e32 v3, 0x7f000000, v1
	v_ffbh_u32_e32 v5, v3
	v_min_u32_e32 v5, 32, v5
	v_sub_u32_e64 v5, v5, 4 clamp
	v_lshlrev_b32_e32 v9, v5, v3
	v_lshlrev_b32_e32 v5, 23, v5
	v_lshrrev_b32_e32 v9, 4, v9
	v_add_u32_e32 v7, 0x1000000, v3
	v_sub_u32_e32 v5, v9, v5
	v_ashrrev_i32_e32 v7, 8, v7
	v_add_u32_e32 v5, 0x3c000000, v5
	v_and_or_b32 v5, v7, s4, v5
	v_cmp_ne_u32_e32 vcc, 0, v3
	v_cndmask_b32_e32 v3, 0, v5, vcc
	s_brev_b32 s4, 1
	v_and_or_b32 v1, v1, s4, v3
.LBB21_1394:
	s_mov_b64 s[4:5], 0
.LBB21_1395:
	s_andn2_b64 vcc, exec, s[4:5]
	s_cbranch_vccnz .LBB21_1397
; %bb.1396:
	global_load_ubyte v1, v[10:11], off
	s_movk_i32 s4, 0x7f00
	s_brev_b32 s5, 16
	s_waitcnt vmcnt(0)
	v_lshlrev_b16_e32 v3, 8, v1
	v_lshlrev_b32_e32 v1, 25, v1
	v_lshrrev_b32_e32 v5, 4, v1
	v_and_or_b32 v7, v3, s4, 0.5
	v_or_b32_e32 v5, 0x70000000, v5
	v_add_f32_e32 v7, -0.5, v7
	v_mul_f32_e32 v5, 0x7800000, v5
	v_cmp_gt_u32_e32 vcc, s5, v1
	v_bfe_i32 v3, v3, 0, 16
	v_cndmask_b32_e32 v1, v5, v7, vcc
	s_brev_b32 s4, 1
	v_and_or_b32 v1, v3, s4, v1
.LBB21_1397:
	s_mov_b64 s[4:5], 0
	s_mov_b64 s[6:7], -1
.LBB21_1398:
	s_andn2_b64 vcc, exec, s[4:5]
	s_mov_b64 s[4:5], 0
	s_cbranch_vccnz .LBB21_1409
; %bb.1399:
	v_mov_b32_e32 v1, 14
	v_cmp_gt_i16_sdwa s[4:5], s17, v1 src0_sel:BYTE_0 src1_sel:DWORD
	s_and_b64 vcc, exec, s[4:5]
	s_cbranch_vccz .LBB21_1402
; %bb.1400:
	v_mov_b32_e32 v1, 15
	v_cmp_eq_u16_sdwa s[0:1], s17, v1 src0_sel:BYTE_0 src1_sel:DWORD
	s_and_b64 vcc, exec, s[0:1]
	s_cbranch_vccz .LBB21_1405
; %bb.1401:
	global_load_ushort v1, v[10:11], off
	s_mov_b64 s[0:1], 0
	s_mov_b64 s[6:7], -1
	s_waitcnt vmcnt(0)
	v_lshlrev_b32_e32 v1, 16, v1
	s_branch .LBB21_1406
.LBB21_1402:
	s_mov_b64 s[12:13], -1
                                        ; implicit-def: $vgpr1
	s_branch .LBB21_1407
.LBB21_1403:
	s_or_saveexec_b64 s[6:7], s[6:7]
	v_mov_b32_e32 v1, s14
	s_xor_b64 exec, exec, s[6:7]
	s_cbranch_execz .LBB21_1384
.LBB21_1404:
	v_cmp_ne_u16_e32 vcc, 0, v3
	s_andn2_b64 s[4:5], s[4:5], exec
	s_and_b64 s[12:13], vcc, exec
	v_mov_b32_e32 v1, 0
	s_or_b64 s[4:5], s[4:5], s[12:13]
	s_or_b64 exec, exec, s[6:7]
	s_and_saveexec_b64 s[6:7], s[4:5]
	s_cbranch_execnz .LBB21_1385
	s_branch .LBB21_1386
.LBB21_1405:
	s_mov_b64 s[0:1], -1
                                        ; implicit-def: $vgpr1
.LBB21_1406:
	s_mov_b64 s[12:13], 0
.LBB21_1407:
	s_mov_b64 s[4:5], 0
	s_and_b64 vcc, exec, s[12:13]
	s_cbranch_vccz .LBB21_1409
; %bb.1408:
	v_mov_b32_e32 v1, 11
	v_cmp_ne_u16_sdwa s[0:1], s17, v1 src0_sel:BYTE_0 src1_sel:DWORD
	s_mov_b64 s[4:5], -1
                                        ; implicit-def: $vgpr1
.LBB21_1409:
	s_and_b64 vcc, exec, s[0:1]
	s_cbranch_vccnz .LBB21_1484
; %bb.1410:
	s_andn2_b64 vcc, exec, s[4:5]
	s_cbranch_vccnz .LBB21_1412
.LBB21_1411:
	global_load_ubyte v1, v[10:11], off
	s_mov_b64 s[6:7], -1
	s_waitcnt vmcnt(0)
	v_cmp_ne_u16_e32 vcc, 0, v1
	v_cndmask_b32_e64 v1, 0, 1.0, vcc
.LBB21_1412:
	s_branch .LBB21_1339
.LBB21_1413:
	v_mov_b32_e32 v1, 5
	v_cmp_lt_i16_sdwa s[0:1], s17, v1 src0_sel:BYTE_0 src1_sel:DWORD
	s_and_b64 vcc, exec, s[0:1]
	s_cbranch_vccnz .LBB21_1418
; %bb.1414:
	v_mov_b32_e32 v1, 8
	v_cmp_lt_i16_sdwa s[0:1], s17, v1 src0_sel:BYTE_0 src1_sel:DWORD
	s_and_b64 vcc, exec, s[0:1]
	s_cbranch_vccnz .LBB21_1419
; %bb.1415:
	;; [unrolled: 5-line block ×3, first 2 shown]
	v_cmp_gt_i16_sdwa s[0:1], s17, v1 src0_sel:BYTE_0 src1_sel:DWORD
	s_and_b64 vcc, exec, s[0:1]
	s_cbranch_vccz .LBB21_1421
; %bb.1417:
	global_load_dwordx2 v[16:17], v[10:11], off
	s_mov_b64 s[0:1], 0
	s_waitcnt vmcnt(0)
	v_cvt_f32_f64_e32 v1, v[16:17]
	s_branch .LBB21_1422
.LBB21_1418:
                                        ; implicit-def: $vgpr1
	s_branch .LBB21_1440
.LBB21_1419:
	s_mov_b64 s[0:1], -1
                                        ; implicit-def: $vgpr1
	s_branch .LBB21_1428
.LBB21_1420:
	s_mov_b64 s[0:1], -1
                                        ; implicit-def: $vgpr1
	s_branch .LBB21_1425
.LBB21_1421:
	s_mov_b64 s[0:1], -1
                                        ; implicit-def: $vgpr1
.LBB21_1422:
	s_andn2_b64 vcc, exec, s[0:1]
	s_cbranch_vccnz .LBB21_1424
; %bb.1423:
	global_load_dword v1, v[10:11], off
.LBB21_1424:
	s_mov_b64 s[0:1], 0
.LBB21_1425:
	s_andn2_b64 vcc, exec, s[0:1]
	s_cbranch_vccnz .LBB21_1427
; %bb.1426:
	global_load_dword v1, v[10:11], off
	s_waitcnt vmcnt(0)
	v_cvt_f32_f16_e32 v1, v1
.LBB21_1427:
	s_mov_b64 s[0:1], 0
.LBB21_1428:
	s_andn2_b64 vcc, exec, s[0:1]
	s_cbranch_vccnz .LBB21_1439
; %bb.1429:
	s_waitcnt vmcnt(0)
	v_mov_b32_e32 v1, 6
	v_cmp_lt_i16_sdwa s[0:1], s17, v1 src0_sel:BYTE_0 src1_sel:DWORD
	s_and_b64 vcc, exec, s[0:1]
	s_cbranch_vccnz .LBB21_1432
; %bb.1430:
	v_cmp_gt_i16_sdwa s[0:1], s17, v1 src0_sel:BYTE_0 src1_sel:DWORD
	s_and_b64 vcc, exec, s[0:1]
	s_cbranch_vccz .LBB21_1433
; %bb.1431:
	global_load_dwordx2 v[16:17], v[10:11], off
	s_mov_b64 s[0:1], 0
	s_waitcnt vmcnt(0)
	v_cvt_f32_f64_e32 v1, v[16:17]
	s_branch .LBB21_1434
.LBB21_1432:
	s_mov_b64 s[0:1], -1
                                        ; implicit-def: $vgpr1
	s_branch .LBB21_1437
.LBB21_1433:
	s_mov_b64 s[0:1], -1
                                        ; implicit-def: $vgpr1
.LBB21_1434:
	s_andn2_b64 vcc, exec, s[0:1]
	s_cbranch_vccnz .LBB21_1436
; %bb.1435:
	global_load_dword v1, v[10:11], off
.LBB21_1436:
	s_mov_b64 s[0:1], 0
.LBB21_1437:
	s_andn2_b64 vcc, exec, s[0:1]
	s_cbranch_vccnz .LBB21_1439
; %bb.1438:
	global_load_ushort v1, v[10:11], off
	s_waitcnt vmcnt(0)
	v_cvt_f32_f16_e32 v1, v1
.LBB21_1439:
	s_cbranch_execnz .LBB21_1459
.LBB21_1440:
	s_waitcnt vmcnt(0)
	v_mov_b32_e32 v1, 2
	v_cmp_lt_i16_sdwa s[0:1], s17, v1 src0_sel:BYTE_0 src1_sel:DWORD
	s_and_b64 vcc, exec, s[0:1]
	s_cbranch_vccnz .LBB21_1444
; %bb.1441:
	v_mov_b32_e32 v1, 3
	v_cmp_lt_i16_sdwa s[0:1], s17, v1 src0_sel:BYTE_0 src1_sel:DWORD
	s_and_b64 vcc, exec, s[0:1]
	s_cbranch_vccnz .LBB21_1445
; %bb.1442:
	v_cmp_gt_i16_sdwa s[0:1], s17, v1 src0_sel:BYTE_0 src1_sel:DWORD
	s_and_b64 vcc, exec, s[0:1]
	s_cbranch_vccz .LBB21_1446
; %bb.1443:
	global_load_dwordx2 v[16:17], v[10:11], off
	s_mov_b64 s[0:1], 0
	s_waitcnt vmcnt(0)
	v_xor_b32_e32 v3, v16, v17
	v_ffbh_i32_e32 v1, v17
	v_ashrrev_i32_e32 v3, 31, v3
	v_add_u32_e32 v1, -1, v1
	v_add_u32_e32 v3, 32, v3
	v_min_u32_e32 v1, v1, v3
	v_lshlrev_b64 v[16:17], v1, v[16:17]
	v_min_u32_e32 v3, 1, v16
	v_or_b32_e32 v3, v17, v3
	v_cvt_f32_i32_e32 v3, v3
	v_sub_u32_e32 v1, 32, v1
	v_ldexp_f32 v1, v3, v1
	s_branch .LBB21_1447
.LBB21_1444:
	s_mov_b64 s[0:1], -1
                                        ; implicit-def: $vgpr1
	s_branch .LBB21_1453
.LBB21_1445:
	s_mov_b64 s[0:1], -1
                                        ; implicit-def: $vgpr1
	s_branch .LBB21_1450
.LBB21_1446:
	s_mov_b64 s[0:1], -1
                                        ; implicit-def: $vgpr1
.LBB21_1447:
	s_andn2_b64 vcc, exec, s[0:1]
	s_cbranch_vccnz .LBB21_1449
; %bb.1448:
	global_load_dword v1, v[10:11], off
	s_waitcnt vmcnt(0)
	v_cvt_f32_i32_e32 v1, v1
.LBB21_1449:
	s_mov_b64 s[0:1], 0
.LBB21_1450:
	s_andn2_b64 vcc, exec, s[0:1]
	s_cbranch_vccnz .LBB21_1452
; %bb.1451:
	global_load_sshort v1, v[10:11], off
	s_waitcnt vmcnt(0)
	v_cvt_f32_i32_e32 v1, v1
.LBB21_1452:
	s_mov_b64 s[0:1], 0
.LBB21_1453:
	s_andn2_b64 vcc, exec, s[0:1]
	s_cbranch_vccnz .LBB21_1459
; %bb.1454:
	v_mov_b32_e32 v1, 0
	v_cmp_gt_i16_sdwa s[0:1], s17, v1 src0_sel:BYTE_0 src1_sel:DWORD
	s_and_b64 vcc, exec, s[0:1]
	s_cbranch_vccz .LBB21_1456
; %bb.1455:
	global_load_sbyte v1, v[10:11], off
	s_mov_b64 s[0:1], 0
	s_waitcnt vmcnt(0)
	v_cvt_f32_i32_e32 v1, v1
	s_branch .LBB21_1457
.LBB21_1456:
	s_mov_b64 s[0:1], -1
                                        ; implicit-def: $vgpr1
.LBB21_1457:
	s_andn2_b64 vcc, exec, s[0:1]
	s_cbranch_vccnz .LBB21_1459
; %bb.1458:
	global_load_ubyte v1, v[10:11], off
	s_waitcnt vmcnt(0)
	v_cvt_f32_ubyte0_e32 v1, v1
.LBB21_1459:
.LBB21_1460:
	s_waitcnt vmcnt(0)
	v_cmp_neq_f32_e32 vcc, 0, v1
	v_mov_b32_e32 v10, 0x7f800000
	s_and_saveexec_b64 s[4:5], vcc
	s_cbranch_execz .LBB21_1472
; %bb.1461:
	v_cmp_ngt_f32_e32 vcc, 0, v1
	v_mov_b32_e32 v10, 0x7fc00000
	s_and_saveexec_b64 s[6:7], vcc
	s_cbranch_execz .LBB21_1471
; %bb.1462:
	v_cmp_ge_f32_e32 vcc, 2.0, v1
                                        ; implicit-def: $vgpr10
	s_and_saveexec_b64 s[0:1], vcc
	s_xor_b64 s[12:13], exec, s[0:1]
	s_cbranch_execz .LBB21_1468
; %bb.1463:
	s_mov_b32 s0, 0x41000000
	v_mul_f32_e32 v3, 0.5, v1
	v_cmp_ge_f32_e32 vcc, s0, v1
                                        ; implicit-def: $vgpr7
                                        ; implicit-def: $vgpr5
	s_and_saveexec_b64 s[0:1], vcc
	s_xor_b64 s[0:1], exec, s[0:1]
	s_cbranch_execz .LBB21_1465
; %bb.1464:
	v_add_f32_e32 v5, -2.0, v3
	v_mov_b32_e32 v7, 0x24199b15
	v_fmac_f32_e32 v7, 0xa2a2e5b9, v5
	v_mov_b32_e32 v9, 0x22a2e5b9
	v_fmac_f32_e32 v9, v5, v7
	v_add_f32_e32 v9, 0xa58c275c, v9
	v_fma_f32 v7, v5, v9, -v7
	v_add_f32_e32 v7, 0x26f736c5, v7
	v_fma_f32 v9, v5, v7, -v9
	;; [unrolled: 2-line block ×23, first 2 shown]
	v_mul_f32_e32 v10, 0x3fb8aa3b, v1
	v_add_f32_e32 v7, 0x3d49f456, v7
	s_mov_b32 s14, 0x3fb8aa3b
	v_rndne_f32_e32 v11, v10
	v_fma_f32 v9, v5, v7, -v9
	v_sub_f32_e32 v13, v10, v11
	v_fma_f32 v10, v1, s14, -v10
	v_add_f32_e32 v9, 0xbdc25b82, v9
	v_fmac_f32_e32 v10, 0x32a5705f, v1
	v_fma_f32 v7, v5, v9, -v7
	v_add_f32_e32 v10, v13, v10
	v_add_f32_e32 v7, 0x3e2fbd64, v7
	v_exp_f32_e32 v10, v10
	v_cvt_i32_f32_e32 v11, v11
	v_fma_f32 v9, v5, v7, -v9
	v_add_f32_e32 v9, 0xbe9bff5e, v9
	v_fma_f32 v5, v5, v9, -v7
	s_mov_b32 s14, 0xc2ce8ed0
	v_add_f32_e32 v9, 0x3f2d4275, v5
	v_ldexp_f32 v5, v10, v11
	v_cmp_ngt_f32_e32 vcc, s14, v1
	s_mov_b32 s14, 0x42b17218
	v_cndmask_b32_e32 v5, 0, v5, vcc
	v_mov_b32_e32 v10, 0x7f800000
	v_cmp_nlt_f32_e32 vcc, s14, v1
	v_sub_f32_e32 v7, v9, v7
	v_cndmask_b32_e32 v5, v10, v5, vcc
	v_mul_f32_e32 v7, 0.5, v7
	v_mul_f32_e32 v7, v5, v7
.LBB21_1465:
	s_andn2_saveexec_b64 s[14:15], s[0:1]
	s_cbranch_execz .LBB21_1467
; %bb.1466:
	s_mov_b32 s18, 0x42000000
	v_div_scale_f32 v5, s[0:1], v1, v1, s18
	v_rcp_f32_e32 v7, v5
	v_div_scale_f32 v9, vcc, s18, v1, s18
	s_mov_b32 s0, 0x3fb8aa3b
	v_fma_f32 v10, -v5, v7, 1.0
	v_fmac_f32_e32 v7, v10, v7
	v_mul_f32_e32 v10, v9, v7
	v_fma_f32 v11, -v5, v10, v9
	v_fmac_f32_e32 v10, v11, v7
	v_fma_f32 v5, -v5, v10, v9
	v_div_fmas_f32 v5, v5, v7, v10
	v_div_fixup_f32 v5, v5, v1, s18
	v_add_f32_e32 v5, -2.0, v5
	v_mov_b32_e32 v7, 0xa2b236d3
	v_fmac_f32_e32 v7, 0xa3056dbb, v5
	v_mov_b32_e32 v9, 0x23056dbb
	v_fmac_f32_e32 v9, v5, v7
	v_add_f32_e32 v9, 0x244df0c1, v9
	v_fma_f32 v7, v5, v9, -v7
	v_add_f32_e32 v7, 0x241f9ee8, v7
	v_fma_f32 v9, v5, v7, -v9
	;; [unrolled: 2-line block ×18, first 2 shown]
	v_mul_f32_e32 v10, 0x3fb8aa3b, v1
	v_add_f32_e32 v9, 0x345c003f, v9
	v_rndne_f32_e32 v11, v10
	v_fma_f32 v7, v5, v9, -v7
	v_sub_f32_e32 v13, v10, v11
	v_fma_f32 v10, v1, s0, -v10
	v_add_f32_e32 v7, 0x3642095e, v7
	v_fmac_f32_e32 v10, 0x32a5705f, v1
	v_fma_f32 v9, v5, v7, -v9
	v_add_f32_e32 v10, v13, v10
	v_add_f32_e32 v9, 0x38907d1c, v9
	v_exp_f32_e32 v10, v10
	v_cvt_i32_f32_e32 v11, v11
	v_fma_f32 v7, v5, v9, -v7
	v_add_f32_e32 v7, 0x3b5ccc65, v7
	v_fma_f32 v5, v5, v7, -v9
	s_mov_b32 s0, 0xc2ce8ed0
	v_add_f32_e32 v7, 0x3f4df315, v5
	v_ldexp_f32 v5, v10, v11
	v_cmp_ngt_f32_e32 vcc, s0, v1
	s_mov_b32 s0, 0x42b17218
	v_cndmask_b32_e32 v5, 0, v5, vcc
	v_mov_b32_e32 v10, 0x7f800000
	v_cmp_nlt_f32_e32 vcc, s0, v1
	s_mov_b32 s0, 0xf800000
	v_cndmask_b32_e32 v5, v10, v5, vcc
	v_mul_f32_e32 v10, 0x4f800000, v1
	v_cmp_gt_f32_e32 vcc, s0, v1
	v_cndmask_b32_e32 v10, v1, v10, vcc
	v_sqrt_f32_e32 v11, v10
	v_sub_f32_e32 v7, v7, v9
	v_mul_f32_e32 v7, 0.5, v7
	v_mul_f32_e32 v7, v5, v7
	v_add_u32_e32 v9, -1, v11
	v_fma_f32 v13, -v9, v11, v10
	v_cmp_ge_f32_e64 s[0:1], 0, v13
	v_add_u32_e32 v13, 1, v11
	v_cndmask_b32_e64 v9, v11, v9, s[0:1]
	v_fma_f32 v11, -v13, v11, v10
	v_cmp_lt_f32_e64 s[0:1], 0, v11
	v_cndmask_b32_e64 v9, v9, v13, s[0:1]
	v_mul_f32_e32 v11, 0x37800000, v9
	v_cndmask_b32_e32 v9, v9, v11, vcc
	v_mov_b32_e32 v11, 0x260
	v_cmp_class_f32_e32 vcc, v10, v11
	v_cndmask_b32_e32 v9, v9, v10, vcc
	v_div_scale_f32 v10, s[0:1], v9, v9, v7
	v_rcp_f32_e32 v11, v10
	v_fma_f32 v13, -v10, v11, 1.0
	v_fmac_f32_e32 v11, v13, v11
	v_div_scale_f32 v13, vcc, v7, v9, v7
	v_mul_f32_e32 v15, v13, v11
	v_fma_f32 v16, -v10, v15, v13
	v_fmac_f32_e32 v15, v16, v11
	v_fma_f32 v10, -v10, v15, v13
	v_div_fmas_f32 v10, v10, v11, v15
	v_div_fixup_f32 v7, v10, v9, v7
.LBB21_1467:
	s_or_b64 exec, exec, s[14:15]
	v_fma_f32 v1, v1, v1, -2.0
	v_mov_b32_e32 v9, 0x293fd856
	v_fmac_f32_e32 v9, 0x251e770f, v1
	v_mov_b32_e32 v10, 0xa51e770f
	v_fmac_f32_e32 v10, v1, v9
	v_add_f32_e32 v10, 0x2d3612e2, v10
	v_fma_f32 v9, v1, v10, -v9
	v_add_f32_e32 v9, 0x3102e09b, v9
	v_fma_f32 v10, v1, v9, -v10
	;; [unrolled: 2-line block ×6, first 2 shown]
	v_add_f32_e32 v10, 0x3eb046c4, v10
	s_mov_b32 s0, 0x800000
	v_fma_f32 v1, v1, v10, -v9
	v_mov_b32_e32 v10, 0x4f800000
	v_cmp_gt_f32_e32 vcc, s0, v3
	v_cndmask_b32_e32 v10, 1.0, v10, vcc
	v_mul_f32_e32 v3, v3, v10
	v_log_f32_e32 v3, v3
	v_add_f32_e32 v1, 0xbf090b37, v1
	v_sub_f32_e32 v1, v1, v9
	s_mov_b32 s0, 0x3f317217
	v_mul_f32_e32 v9, 0x3f317217, v3
	v_fma_f32 v10, v3, s0, -v9
	v_fmac_f32_e32 v10, 0x3377d1cf, v3
	s_mov_b32 s0, 0x7f800000
	v_add_f32_e32 v9, v9, v10
	v_cmp_lt_f32_e64 s[0:1], |v3|, s0
	v_cndmask_b32_e64 v3, v3, v9, s[0:1]
	v_mov_b32_e32 v9, 0x41b17218
	v_cndmask_b32_e32 v9, 0, v9, vcc
	v_sub_f32_e32 v3, v3, v9
	v_mul_f32_e32 v3, v3, v7
	v_fma_f32 v1, v1, 0.5, -v3
	v_mul_f32_e32 v10, v5, v1
                                        ; implicit-def: $vgpr1
.LBB21_1468:
	s_andn2_saveexec_b64 s[12:13], s[12:13]
	s_cbranch_execz .LBB21_1470
; %bb.1469:
	s_mov_b32 s14, 0x41000000
	v_div_scale_f32 v3, s[0:1], v1, v1, s14
	v_rcp_f32_e32 v5, v3
	v_div_scale_f32 v7, vcc, s14, v1, s14
	s_mov_b32 s0, 0xf800000
	v_fma_f32 v9, -v3, v5, 1.0
	v_fmac_f32_e32 v5, v9, v5
	v_mul_f32_e32 v9, v7, v5
	v_fma_f32 v10, -v3, v9, v7
	v_fmac_f32_e32 v9, v10, v5
	v_fma_f32 v3, -v3, v9, v7
	v_div_fmas_f32 v3, v3, v5, v9
	v_div_fixup_f32 v3, v3, v1, s14
	v_add_f32_e32 v3, -2.0, v3
	v_mov_b32_e32 v5, 0xa397f665
	v_fmac_f32_e32 v5, 0x22c38d2e, v3
	v_mov_b32_e32 v7, 0xa2c38d2e
	v_fmac_f32_e32 v7, v3, v5
	v_add_f32_e32 v7, 0x24704972, v7
	v_fma_f32 v5, v3, v7, -v5
	v_add_f32_e32 v5, 0xa5417ca4, v5
	v_fma_f32 v7, v3, v5, -v7
	;; [unrolled: 2-line block ×22, first 2 shown]
	v_mul_f32_e32 v5, 0x4f800000, v1
	v_cmp_gt_f32_e32 vcc, s0, v1
	v_cndmask_b32_e32 v1, v1, v5, vcc
	v_sqrt_f32_e32 v5, v1
	v_add_f32_e32 v3, 0x401c2ded, v3
	v_sub_f32_e32 v3, v3, v7
	v_mul_f32_e32 v3, 0.5, v3
	v_add_u32_e32 v7, -1, v5
	v_fma_f32 v9, -v7, v5, v1
	v_cmp_ge_f32_e64 s[0:1], 0, v9
	v_add_u32_e32 v9, 1, v5
	v_cndmask_b32_e64 v7, v5, v7, s[0:1]
	v_fma_f32 v5, -v9, v5, v1
	v_cmp_lt_f32_e64 s[0:1], 0, v5
	v_cndmask_b32_e64 v5, v7, v9, s[0:1]
	v_mul_f32_e32 v7, 0x37800000, v5
	v_cndmask_b32_e32 v5, v5, v7, vcc
	v_mov_b32_e32 v7, 0x260
	v_cmp_class_f32_e32 vcc, v1, v7
	v_cndmask_b32_e32 v1, v5, v1, vcc
	v_div_scale_f32 v5, s[0:1], v1, v1, v3
	v_rcp_f32_e32 v7, v5
	v_fma_f32 v9, -v5, v7, 1.0
	v_fmac_f32_e32 v7, v9, v7
	v_div_scale_f32 v9, vcc, v3, v1, v3
	v_mul_f32_e32 v10, v9, v7
	v_fma_f32 v11, -v5, v10, v9
	v_fmac_f32_e32 v10, v11, v7
	v_fma_f32 v5, -v5, v10, v9
	v_div_fmas_f32 v5, v5, v7, v10
	v_div_fixup_f32 v10, v5, v1, v3
.LBB21_1470:
	s_or_b64 exec, exec, s[12:13]
.LBB21_1471:
	s_or_b64 exec, exec, s[6:7]
.LBB21_1472:
	s_or_b64 exec, exec, s[4:5]
	v_mov_b32_e32 v1, s11
	v_add_co_u32_e32 v14, vcc, s10, v14
	v_addc_co_u32_e32 v15, vcc, 0, v1, vcc
	v_mov_b32_e32 v1, 11
	v_cmp_lt_i16_sdwa s[0:1], s17, v1 src0_sel:BYTE_0 src1_sel:DWORD
	s_and_b64 vcc, exec, s[0:1]
	s_cbranch_vccnz .LBB21_1479
; %bb.1473:
	v_mov_b32_e32 v1, 25
	v_cmp_gt_i16_sdwa s[0:1], s17, v1 src0_sel:BYTE_0 src1_sel:DWORD
	s_mov_b64 s[4:5], 0
	s_and_b64 vcc, exec, s[0:1]
	s_cbranch_vccz .LBB21_1481
; %bb.1474:
	v_mov_b32_e32 v1, 28
	v_cmp_gt_i16_sdwa s[0:1], s17, v1 src0_sel:BYTE_0 src1_sel:DWORD
	s_and_b64 vcc, exec, s[0:1]
	s_cbranch_vccz .LBB21_1482
; %bb.1475:
	v_mov_b32_e32 v1, 43
	v_cmp_gt_i16_sdwa s[0:1], s17, v1 src0_sel:BYTE_0 src1_sel:DWORD
	;; [unrolled: 5-line block ×3, first 2 shown]
	s_and_b64 vcc, exec, s[0:1]
	s_cbranch_vccz .LBB21_1485
; %bb.1477:
	v_mov_b32_e32 v1, 46
	v_cmp_eq_u16_sdwa s[0:1], s17, v1 src0_sel:BYTE_0 src1_sel:DWORD
	s_mov_b64 s[12:13], 0
	s_and_b64 vcc, exec, s[0:1]
	s_cbranch_vccz .LBB21_1486
; %bb.1478:
	global_load_dword v1, v[14:15], off
	s_mov_b64 s[0:1], 0
	s_mov_b64 s[6:7], -1
	s_waitcnt vmcnt(0)
	v_lshlrev_b32_e32 v1, 16, v1
	s_branch .LBB21_1487
.LBB21_1479:
	s_mov_b64 s[6:7], 0
                                        ; implicit-def: $vgpr1
	s_cbranch_execnz .LBB21_1553
.LBB21_1480:
	s_andn2_b64 vcc, exec, s[6:7]
	s_cbranch_vccnz .LBB21_1762
	s_branch .LBB21_1601
.LBB21_1481:
	s_mov_b64 s[12:13], -1
	s_mov_b64 s[6:7], 0
	s_mov_b64 s[0:1], 0
                                        ; implicit-def: $vgpr1
	s_branch .LBB21_1516
.LBB21_1482:
	s_mov_b64 s[12:13], -1
	s_mov_b64 s[6:7], 0
	s_mov_b64 s[0:1], 0
                                        ; implicit-def: $vgpr1
	s_branch .LBB21_1497
.LBB21_1483:
	s_mov_b64 s[12:13], -1
	s_mov_b64 s[6:7], 0
	s_mov_b64 s[0:1], 0
                                        ; implicit-def: $vgpr1
	s_branch .LBB21_1492
.LBB21_1484:
	s_trap 2
	s_or_b64 s[2:3], s[2:3], exec
                                        ; implicit-def: $vgpr1
	s_cbranch_execz .LBB21_1411
	s_branch .LBB21_1412
.LBB21_1485:
	s_mov_b64 s[12:13], -1
	s_mov_b64 s[6:7], 0
	s_mov_b64 s[0:1], 0
                                        ; implicit-def: $vgpr1
	s_branch .LBB21_1487
.LBB21_1486:
	s_mov_b64 s[0:1], -1
                                        ; implicit-def: $vgpr1
	s_mov_b64 s[6:7], 0
.LBB21_1487:
	s_and_b64 vcc, exec, s[12:13]
	s_cbranch_vccz .LBB21_1491
; %bb.1488:
	v_mov_b32_e32 v1, 44
	v_cmp_eq_u16_sdwa s[0:1], s17, v1 src0_sel:BYTE_0 src1_sel:DWORD
	s_and_b64 vcc, exec, s[0:1]
	s_cbranch_vccz .LBB21_1490
; %bb.1489:
	global_load_ubyte v1, v[14:15], off
	s_movk_i32 s6, 0xff
	v_mov_b32_e32 v3, 0x7f800001
	v_mov_b32_e32 v5, 0x400000
	s_mov_b64 s[0:1], 0
	s_waitcnt vmcnt(0)
	v_lshlrev_b32_e32 v7, 23, v1
	v_cmp_ne_u32_e32 vcc, s6, v1
	v_cndmask_b32_e32 v3, v3, v7, vcc
	v_cmp_ne_u32_e32 vcc, 0, v1
	v_cndmask_b32_e32 v1, v5, v3, vcc
	s_mov_b64 s[6:7], -1
	s_branch .LBB21_1491
.LBB21_1490:
	s_mov_b64 s[0:1], -1
                                        ; implicit-def: $vgpr1
.LBB21_1491:
	s_mov_b64 s[12:13], 0
.LBB21_1492:
	s_and_b64 vcc, exec, s[12:13]
	s_cbranch_vccz .LBB21_1496
; %bb.1493:
	v_mov_b32_e32 v1, 29
	v_cmp_eq_u16_sdwa s[0:1], s17, v1 src0_sel:BYTE_0 src1_sel:DWORD
	s_and_b64 vcc, exec, s[0:1]
	s_cbranch_vccz .LBB21_1495
; %bb.1494:
	global_load_dwordx2 v[16:17], v[14:15], off
	s_mov_b64 s[0:1], 0
	s_mov_b64 s[6:7], -1
	s_mov_b64 s[12:13], 0
	s_waitcnt vmcnt(0)
	v_ffbh_u32_e32 v1, v17
	v_min_u32_e32 v1, 32, v1
	v_lshlrev_b64 v[16:17], v1, v[16:17]
	v_min_u32_e32 v3, 1, v16
	v_or_b32_e32 v3, v17, v3
	v_cvt_f32_u32_e32 v3, v3
	v_sub_u32_e32 v1, 32, v1
	v_ldexp_f32 v1, v3, v1
	s_branch .LBB21_1497
.LBB21_1495:
	s_mov_b64 s[0:1], -1
                                        ; implicit-def: $vgpr1
.LBB21_1496:
	s_mov_b64 s[12:13], 0
.LBB21_1497:
	s_and_b64 vcc, exec, s[12:13]
	s_cbranch_vccz .LBB21_1515
; %bb.1498:
	v_mov_b32_e32 v1, 27
	v_cmp_lt_i16_sdwa s[6:7], s17, v1 src0_sel:BYTE_0 src1_sel:DWORD
	s_and_b64 vcc, exec, s[6:7]
	s_cbranch_vccnz .LBB21_1501
; %bb.1499:
	v_cmp_gt_i16_sdwa s[6:7], s17, v1 src0_sel:BYTE_0 src1_sel:DWORD
	s_and_b64 vcc, exec, s[6:7]
	s_cbranch_vccz .LBB21_1502
; %bb.1500:
	global_load_dword v1, v[14:15], off
	s_mov_b64 s[6:7], 0
	s_waitcnt vmcnt(0)
	v_cvt_f32_u32_e32 v1, v1
	s_branch .LBB21_1503
.LBB21_1501:
	s_mov_b64 s[6:7], -1
                                        ; implicit-def: $vgpr1
	s_branch .LBB21_1506
.LBB21_1502:
	s_mov_b64 s[6:7], -1
                                        ; implicit-def: $vgpr1
.LBB21_1503:
	s_andn2_b64 vcc, exec, s[6:7]
	s_cbranch_vccnz .LBB21_1505
; %bb.1504:
	global_load_ushort v1, v[14:15], off
	s_waitcnt vmcnt(0)
	v_cvt_f32_u32_e32 v1, v1
.LBB21_1505:
	s_mov_b64 s[6:7], 0
.LBB21_1506:
	s_andn2_b64 vcc, exec, s[6:7]
	s_cbranch_vccnz .LBB21_1514
; %bb.1507:
	global_load_ubyte v3, v[14:15], off
	s_movk_i32 s6, 0x7f
                                        ; implicit-def: $sgpr18
	s_waitcnt vmcnt(0)
	v_cmp_lt_i16_e32 vcc, s6, v3
	s_mov_b64 s[6:7], 0
	s_and_saveexec_b64 s[12:13], vcc
	s_xor_b64 s[12:13], exec, s[12:13]
	s_cbranch_execz .LBB21_1528
; %bb.1508:
	s_movk_i32 s6, 0x80
	v_cmp_eq_u16_e32 vcc, s6, v3
	s_mov_b64 s[6:7], -1
                                        ; implicit-def: $sgpr18
	s_and_saveexec_b64 s[14:15], vcc
; %bb.1509:
	s_mov_b32 s18, 0x7f800001
	s_xor_b64 s[6:7], exec, -1
; %bb.1510:
	s_or_b64 exec, exec, s[14:15]
	s_and_b64 s[6:7], s[6:7], exec
	s_or_saveexec_b64 s[12:13], s[12:13]
	v_mov_b32_e32 v1, s18
	s_xor_b64 exec, exec, s[12:13]
	s_cbranch_execnz .LBB21_1529
.LBB21_1511:
	s_or_b64 exec, exec, s[12:13]
	s_and_saveexec_b64 s[12:13], s[6:7]
	s_cbranch_execz .LBB21_1513
.LBB21_1512:
	v_lshlrev_b32_e32 v1, 24, v3
	v_and_b32_e32 v3, 0xffff, v3
	v_and_b32_e32 v5, 7, v3
	v_ffbh_u32_e32 v9, v5
	v_min_u32_e32 v9, 32, v9
	v_subrev_u32_e32 v11, 28, v9
	v_bfe_u32 v7, v3, 3, 4
	v_lshlrev_b32_e32 v3, v11, v3
	v_sub_u32_e32 v9, 29, v9
	v_and_b32_e32 v3, 7, v3
	v_cmp_eq_u32_e32 vcc, 0, v7
	v_cndmask_b32_e32 v7, v7, v9, vcc
	v_cndmask_b32_e32 v3, v5, v3, vcc
	v_mov_b32_e32 v5, 0x3b800000
	v_lshlrev_b32_e32 v3, 20, v3
	v_and_b32_e32 v1, 0x80000000, v1
	v_lshl_add_u32 v5, v7, 23, v5
	v_or3_b32 v1, v1, v5, v3
.LBB21_1513:
	s_or_b64 exec, exec, s[12:13]
.LBB21_1514:
	s_mov_b64 s[6:7], -1
.LBB21_1515:
	s_mov_b64 s[12:13], 0
.LBB21_1516:
	s_and_b64 vcc, exec, s[12:13]
	s_cbranch_vccz .LBB21_1549
; %bb.1517:
	v_mov_b32_e32 v1, 22
	v_cmp_gt_i16_sdwa s[4:5], s17, v1 src0_sel:BYTE_0 src1_sel:DWORD
	s_and_b64 vcc, exec, s[4:5]
	s_cbranch_vccz .LBB21_1527
; %bb.1518:
	v_mov_b32_e32 v1, 24
	v_cmp_lt_i16_sdwa s[4:5], s17, v1 src0_sel:BYTE_0 src1_sel:DWORD
	s_and_b64 vcc, exec, s[4:5]
	s_cbranch_vccnz .LBB21_1530
; %bb.1519:
	v_cmp_gt_i16_sdwa s[4:5], s17, v1 src0_sel:BYTE_0 src1_sel:DWORD
	s_and_b64 vcc, exec, s[4:5]
	s_cbranch_vccz .LBB21_1531
; %bb.1520:
	global_load_ubyte v3, v[14:15], off
	s_movk_i32 s4, 0x7f
                                        ; implicit-def: $sgpr14
	s_waitcnt vmcnt(0)
	v_cmp_lt_i16_e32 vcc, s4, v3
	s_mov_b64 s[4:5], 0
	s_and_saveexec_b64 s[6:7], vcc
	s_xor_b64 s[6:7], exec, s[6:7]
	s_cbranch_execz .LBB21_1543
; %bb.1521:
	s_movk_i32 s4, 0x80
	v_cmp_eq_u16_e32 vcc, s4, v3
	s_mov_b64 s[4:5], -1
                                        ; implicit-def: $sgpr14
	s_and_saveexec_b64 s[12:13], vcc
; %bb.1522:
	s_mov_b32 s14, 0x7f800001
	s_xor_b64 s[4:5], exec, -1
; %bb.1523:
	s_or_b64 exec, exec, s[12:13]
	s_and_b64 s[4:5], s[4:5], exec
	s_or_saveexec_b64 s[6:7], s[6:7]
	v_mov_b32_e32 v1, s14
	s_xor_b64 exec, exec, s[6:7]
	s_cbranch_execnz .LBB21_1544
.LBB21_1524:
	s_or_b64 exec, exec, s[6:7]
	s_and_saveexec_b64 s[6:7], s[4:5]
	s_cbranch_execz .LBB21_1526
.LBB21_1525:
	v_lshlrev_b32_e32 v1, 24, v3
	v_and_b32_e32 v3, 0xffff, v3
	v_and_b32_e32 v5, 3, v3
	v_ffbh_u32_e32 v9, v5
	v_min_u32_e32 v9, 32, v9
	v_subrev_u32_e32 v11, 29, v9
	v_bfe_u32 v7, v3, 2, 5
	v_lshlrev_b32_e32 v3, v11, v3
	v_sub_u32_e32 v9, 30, v9
	v_and_b32_e32 v3, 3, v3
	v_cmp_eq_u32_e32 vcc, 0, v7
	v_cndmask_b32_e32 v7, v7, v9, vcc
	v_cndmask_b32_e32 v3, v5, v3, vcc
	v_mov_b32_e32 v5, 0x37800000
	v_lshlrev_b32_e32 v3, 21, v3
	v_and_b32_e32 v1, 0x80000000, v1
	v_lshl_add_u32 v5, v7, 23, v5
	v_or3_b32 v1, v1, v5, v3
.LBB21_1526:
	s_or_b64 exec, exec, s[6:7]
	s_mov_b64 s[4:5], 0
	s_branch .LBB21_1532
.LBB21_1527:
	s_mov_b64 s[4:5], -1
                                        ; implicit-def: $vgpr1
	s_branch .LBB21_1538
.LBB21_1528:
	s_or_saveexec_b64 s[12:13], s[12:13]
	v_mov_b32_e32 v1, s18
	s_xor_b64 exec, exec, s[12:13]
	s_cbranch_execz .LBB21_1511
.LBB21_1529:
	v_cmp_ne_u16_e32 vcc, 0, v3
	s_andn2_b64 s[6:7], s[6:7], exec
	s_and_b64 s[14:15], vcc, exec
	v_mov_b32_e32 v1, 0
	s_or_b64 s[6:7], s[6:7], s[14:15]
	s_or_b64 exec, exec, s[12:13]
	s_and_saveexec_b64 s[12:13], s[6:7]
	s_cbranch_execnz .LBB21_1512
	s_branch .LBB21_1513
.LBB21_1530:
	s_mov_b64 s[4:5], -1
                                        ; implicit-def: $vgpr1
	s_branch .LBB21_1535
.LBB21_1531:
	s_mov_b64 s[4:5], -1
                                        ; implicit-def: $vgpr1
.LBB21_1532:
	s_and_b64 vcc, exec, s[4:5]
	s_cbranch_vccz .LBB21_1534
; %bb.1533:
	global_load_ubyte v1, v[14:15], off
	s_mov_b32 s4, 0x7f800000
	s_waitcnt vmcnt(0)
	v_lshlrev_b32_e32 v1, 24, v1
	v_and_b32_e32 v3, 0x7f000000, v1
	v_ffbh_u32_e32 v5, v3
	v_min_u32_e32 v5, 32, v5
	v_sub_u32_e64 v5, v5, 4 clamp
	v_lshlrev_b32_e32 v9, v5, v3
	v_lshlrev_b32_e32 v5, 23, v5
	v_lshrrev_b32_e32 v9, 4, v9
	v_add_u32_e32 v7, 0x1000000, v3
	v_sub_u32_e32 v5, v9, v5
	v_ashrrev_i32_e32 v7, 8, v7
	v_add_u32_e32 v5, 0x3c000000, v5
	v_and_or_b32 v5, v7, s4, v5
	v_cmp_ne_u32_e32 vcc, 0, v3
	v_cndmask_b32_e32 v3, 0, v5, vcc
	s_brev_b32 s4, 1
	v_and_or_b32 v1, v1, s4, v3
.LBB21_1534:
	s_mov_b64 s[4:5], 0
.LBB21_1535:
	s_andn2_b64 vcc, exec, s[4:5]
	s_cbranch_vccnz .LBB21_1537
; %bb.1536:
	global_load_ubyte v1, v[14:15], off
	s_movk_i32 s4, 0x7f00
	s_brev_b32 s5, 16
	s_waitcnt vmcnt(0)
	v_lshlrev_b16_e32 v3, 8, v1
	v_lshlrev_b32_e32 v1, 25, v1
	v_lshrrev_b32_e32 v5, 4, v1
	v_and_or_b32 v7, v3, s4, 0.5
	v_or_b32_e32 v5, 0x70000000, v5
	v_add_f32_e32 v7, -0.5, v7
	v_mul_f32_e32 v5, 0x7800000, v5
	v_cmp_gt_u32_e32 vcc, s5, v1
	v_bfe_i32 v3, v3, 0, 16
	v_cndmask_b32_e32 v1, v5, v7, vcc
	s_brev_b32 s4, 1
	v_and_or_b32 v1, v3, s4, v1
.LBB21_1537:
	s_mov_b64 s[4:5], 0
	s_mov_b64 s[6:7], -1
.LBB21_1538:
	s_andn2_b64 vcc, exec, s[4:5]
	s_mov_b64 s[4:5], 0
	s_cbranch_vccnz .LBB21_1549
; %bb.1539:
	v_mov_b32_e32 v1, 14
	v_cmp_gt_i16_sdwa s[4:5], s17, v1 src0_sel:BYTE_0 src1_sel:DWORD
	s_and_b64 vcc, exec, s[4:5]
	s_cbranch_vccz .LBB21_1542
; %bb.1540:
	v_mov_b32_e32 v1, 15
	v_cmp_eq_u16_sdwa s[0:1], s17, v1 src0_sel:BYTE_0 src1_sel:DWORD
	s_and_b64 vcc, exec, s[0:1]
	s_cbranch_vccz .LBB21_1545
; %bb.1541:
	global_load_ushort v1, v[14:15], off
	s_mov_b64 s[0:1], 0
	s_mov_b64 s[6:7], -1
	s_waitcnt vmcnt(0)
	v_lshlrev_b32_e32 v1, 16, v1
	s_branch .LBB21_1546
.LBB21_1542:
	s_mov_b64 s[12:13], -1
                                        ; implicit-def: $vgpr1
	s_branch .LBB21_1547
.LBB21_1543:
	s_or_saveexec_b64 s[6:7], s[6:7]
	v_mov_b32_e32 v1, s14
	s_xor_b64 exec, exec, s[6:7]
	s_cbranch_execz .LBB21_1524
.LBB21_1544:
	v_cmp_ne_u16_e32 vcc, 0, v3
	s_andn2_b64 s[4:5], s[4:5], exec
	s_and_b64 s[12:13], vcc, exec
	v_mov_b32_e32 v1, 0
	s_or_b64 s[4:5], s[4:5], s[12:13]
	s_or_b64 exec, exec, s[6:7]
	s_and_saveexec_b64 s[6:7], s[4:5]
	s_cbranch_execnz .LBB21_1525
	s_branch .LBB21_1526
.LBB21_1545:
	s_mov_b64 s[0:1], -1
                                        ; implicit-def: $vgpr1
.LBB21_1546:
	s_mov_b64 s[12:13], 0
.LBB21_1547:
	s_mov_b64 s[4:5], 0
	s_and_b64 vcc, exec, s[12:13]
	s_cbranch_vccz .LBB21_1549
; %bb.1548:
	v_mov_b32_e32 v1, 11
	v_cmp_ne_u16_sdwa s[0:1], s17, v1 src0_sel:BYTE_0 src1_sel:DWORD
	s_mov_b64 s[4:5], -1
                                        ; implicit-def: $vgpr1
.LBB21_1549:
	s_and_b64 vcc, exec, s[0:1]
	s_cbranch_vccnz .LBB21_1624
; %bb.1550:
	s_andn2_b64 vcc, exec, s[4:5]
	s_cbranch_vccnz .LBB21_1552
.LBB21_1551:
	global_load_ubyte v1, v[14:15], off
	s_mov_b64 s[6:7], -1
	s_waitcnt vmcnt(0)
	v_cmp_ne_u16_e32 vcc, 0, v1
	v_cndmask_b32_e64 v1, 0, 1.0, vcc
.LBB21_1552:
	s_branch .LBB21_1480
.LBB21_1553:
	v_mov_b32_e32 v1, 5
	v_cmp_lt_i16_sdwa s[0:1], s17, v1 src0_sel:BYTE_0 src1_sel:DWORD
	s_and_b64 vcc, exec, s[0:1]
	s_cbranch_vccnz .LBB21_1558
; %bb.1554:
	v_mov_b32_e32 v1, 8
	v_cmp_lt_i16_sdwa s[0:1], s17, v1 src0_sel:BYTE_0 src1_sel:DWORD
	s_and_b64 vcc, exec, s[0:1]
	s_cbranch_vccnz .LBB21_1559
; %bb.1555:
	;; [unrolled: 5-line block ×3, first 2 shown]
	v_cmp_gt_i16_sdwa s[0:1], s17, v1 src0_sel:BYTE_0 src1_sel:DWORD
	s_and_b64 vcc, exec, s[0:1]
	s_cbranch_vccz .LBB21_1561
; %bb.1557:
	global_load_dwordx2 v[16:17], v[14:15], off
	s_mov_b64 s[0:1], 0
	s_waitcnt vmcnt(0)
	v_cvt_f32_f64_e32 v1, v[16:17]
	s_branch .LBB21_1562
.LBB21_1558:
	s_mov_b64 s[0:1], -1
                                        ; implicit-def: $vgpr1
	s_branch .LBB21_1580
.LBB21_1559:
	s_mov_b64 s[0:1], -1
                                        ; implicit-def: $vgpr1
	s_branch .LBB21_1568
.LBB21_1560:
	s_mov_b64 s[0:1], -1
                                        ; implicit-def: $vgpr1
	s_branch .LBB21_1565
.LBB21_1561:
	s_mov_b64 s[0:1], -1
                                        ; implicit-def: $vgpr1
.LBB21_1562:
	s_andn2_b64 vcc, exec, s[0:1]
	s_cbranch_vccnz .LBB21_1564
; %bb.1563:
	global_load_dword v1, v[14:15], off
.LBB21_1564:
	s_mov_b64 s[0:1], 0
.LBB21_1565:
	s_andn2_b64 vcc, exec, s[0:1]
	s_cbranch_vccnz .LBB21_1567
; %bb.1566:
	global_load_dword v1, v[14:15], off
	s_waitcnt vmcnt(0)
	v_cvt_f32_f16_e32 v1, v1
.LBB21_1567:
	s_mov_b64 s[0:1], 0
.LBB21_1568:
	s_andn2_b64 vcc, exec, s[0:1]
	s_cbranch_vccnz .LBB21_1579
; %bb.1569:
	s_waitcnt vmcnt(0)
	v_mov_b32_e32 v1, 6
	v_cmp_lt_i16_sdwa s[0:1], s17, v1 src0_sel:BYTE_0 src1_sel:DWORD
	s_and_b64 vcc, exec, s[0:1]
	s_cbranch_vccnz .LBB21_1572
; %bb.1570:
	v_cmp_gt_i16_sdwa s[0:1], s17, v1 src0_sel:BYTE_0 src1_sel:DWORD
	s_and_b64 vcc, exec, s[0:1]
	s_cbranch_vccz .LBB21_1573
; %bb.1571:
	global_load_dwordx2 v[16:17], v[14:15], off
	s_mov_b64 s[0:1], 0
	s_waitcnt vmcnt(0)
	v_cvt_f32_f64_e32 v1, v[16:17]
	s_branch .LBB21_1574
.LBB21_1572:
	s_mov_b64 s[0:1], -1
                                        ; implicit-def: $vgpr1
	s_branch .LBB21_1577
.LBB21_1573:
	s_mov_b64 s[0:1], -1
                                        ; implicit-def: $vgpr1
.LBB21_1574:
	s_andn2_b64 vcc, exec, s[0:1]
	s_cbranch_vccnz .LBB21_1576
; %bb.1575:
	global_load_dword v1, v[14:15], off
.LBB21_1576:
	s_mov_b64 s[0:1], 0
.LBB21_1577:
	s_andn2_b64 vcc, exec, s[0:1]
	s_cbranch_vccnz .LBB21_1579
; %bb.1578:
	global_load_ushort v1, v[14:15], off
	s_waitcnt vmcnt(0)
	v_cvt_f32_f16_e32 v1, v1
.LBB21_1579:
	s_mov_b64 s[0:1], 0
.LBB21_1580:
	s_andn2_b64 vcc, exec, s[0:1]
	s_cbranch_vccnz .LBB21_1600
; %bb.1581:
	s_waitcnt vmcnt(0)
	v_mov_b32_e32 v1, 2
	v_cmp_lt_i16_sdwa s[0:1], s17, v1 src0_sel:BYTE_0 src1_sel:DWORD
	s_and_b64 vcc, exec, s[0:1]
	s_cbranch_vccnz .LBB21_1585
; %bb.1582:
	v_mov_b32_e32 v1, 3
	v_cmp_lt_i16_sdwa s[0:1], s17, v1 src0_sel:BYTE_0 src1_sel:DWORD
	s_and_b64 vcc, exec, s[0:1]
	s_cbranch_vccnz .LBB21_1586
; %bb.1583:
	v_cmp_gt_i16_sdwa s[0:1], s17, v1 src0_sel:BYTE_0 src1_sel:DWORD
	s_and_b64 vcc, exec, s[0:1]
	s_cbranch_vccz .LBB21_1587
; %bb.1584:
	global_load_dwordx2 v[16:17], v[14:15], off
	s_mov_b64 s[0:1], 0
	s_waitcnt vmcnt(0)
	v_xor_b32_e32 v3, v16, v17
	v_ffbh_i32_e32 v1, v17
	v_ashrrev_i32_e32 v3, 31, v3
	v_add_u32_e32 v1, -1, v1
	v_add_u32_e32 v3, 32, v3
	v_min_u32_e32 v1, v1, v3
	v_lshlrev_b64 v[16:17], v1, v[16:17]
	v_min_u32_e32 v3, 1, v16
	v_or_b32_e32 v3, v17, v3
	v_cvt_f32_i32_e32 v3, v3
	v_sub_u32_e32 v1, 32, v1
	v_ldexp_f32 v1, v3, v1
	s_branch .LBB21_1588
.LBB21_1585:
	s_mov_b64 s[0:1], -1
                                        ; implicit-def: $vgpr1
	s_branch .LBB21_1594
.LBB21_1586:
	s_mov_b64 s[0:1], -1
                                        ; implicit-def: $vgpr1
	s_branch .LBB21_1591
.LBB21_1587:
	s_mov_b64 s[0:1], -1
                                        ; implicit-def: $vgpr1
.LBB21_1588:
	s_andn2_b64 vcc, exec, s[0:1]
	s_cbranch_vccnz .LBB21_1590
; %bb.1589:
	global_load_dword v1, v[14:15], off
	s_waitcnt vmcnt(0)
	v_cvt_f32_i32_e32 v1, v1
.LBB21_1590:
	s_mov_b64 s[0:1], 0
.LBB21_1591:
	s_andn2_b64 vcc, exec, s[0:1]
	s_cbranch_vccnz .LBB21_1593
; %bb.1592:
	global_load_sshort v1, v[14:15], off
	s_waitcnt vmcnt(0)
	v_cvt_f32_i32_e32 v1, v1
.LBB21_1593:
	s_mov_b64 s[0:1], 0
.LBB21_1594:
	s_andn2_b64 vcc, exec, s[0:1]
	s_cbranch_vccnz .LBB21_1600
; %bb.1595:
	v_mov_b32_e32 v1, 0
	v_cmp_gt_i16_sdwa s[0:1], s17, v1 src0_sel:BYTE_0 src1_sel:DWORD
	s_and_b64 vcc, exec, s[0:1]
	s_cbranch_vccz .LBB21_1597
; %bb.1596:
	global_load_sbyte v1, v[14:15], off
	s_mov_b64 s[0:1], 0
	s_waitcnt vmcnt(0)
	v_cvt_f32_i32_e32 v1, v1
	s_branch .LBB21_1598
.LBB21_1597:
	s_mov_b64 s[0:1], -1
                                        ; implicit-def: $vgpr1
.LBB21_1598:
	s_andn2_b64 vcc, exec, s[0:1]
	s_cbranch_vccnz .LBB21_1600
; %bb.1599:
	global_load_ubyte v1, v[14:15], off
	s_waitcnt vmcnt(0)
	v_cvt_f32_ubyte0_e32 v1, v1
.LBB21_1600:
.LBB21_1601:
	s_waitcnt vmcnt(0)
	v_cmp_neq_f32_e32 vcc, 0, v1
	v_mov_b32_e32 v14, 0x7f800000
	s_and_saveexec_b64 s[4:5], vcc
	s_cbranch_execz .LBB21_1613
; %bb.1602:
	v_cmp_ngt_f32_e32 vcc, 0, v1
	v_mov_b32_e32 v14, 0x7fc00000
	s_and_saveexec_b64 s[6:7], vcc
	s_cbranch_execz .LBB21_1612
; %bb.1603:
	v_cmp_ge_f32_e32 vcc, 2.0, v1
                                        ; implicit-def: $vgpr14
	s_and_saveexec_b64 s[0:1], vcc
	s_xor_b64 s[12:13], exec, s[0:1]
	s_cbranch_execz .LBB21_1609
; %bb.1604:
	s_mov_b32 s0, 0x41000000
	v_mul_f32_e32 v3, 0.5, v1
	v_cmp_ge_f32_e32 vcc, s0, v1
                                        ; implicit-def: $vgpr7
                                        ; implicit-def: $vgpr5
	s_and_saveexec_b64 s[0:1], vcc
	s_xor_b64 s[0:1], exec, s[0:1]
	s_cbranch_execz .LBB21_1606
; %bb.1605:
	v_add_f32_e32 v5, -2.0, v3
	v_mov_b32_e32 v7, 0x24199b15
	v_fmac_f32_e32 v7, 0xa2a2e5b9, v5
	v_mov_b32_e32 v9, 0x22a2e5b9
	v_fmac_f32_e32 v9, v5, v7
	v_add_f32_e32 v9, 0xa58c275c, v9
	v_fma_f32 v7, v5, v9, -v7
	v_add_f32_e32 v7, 0x26f736c5, v7
	v_fma_f32 v9, v5, v7, -v9
	;; [unrolled: 2-line block ×23, first 2 shown]
	v_mul_f32_e32 v11, 0x3fb8aa3b, v1
	v_add_f32_e32 v7, 0x3d49f456, v7
	s_mov_b32 s14, 0x3fb8aa3b
	v_rndne_f32_e32 v13, v11
	v_fma_f32 v9, v5, v7, -v9
	v_sub_f32_e32 v14, v11, v13
	v_fma_f32 v11, v1, s14, -v11
	v_add_f32_e32 v9, 0xbdc25b82, v9
	v_fmac_f32_e32 v11, 0x32a5705f, v1
	v_fma_f32 v7, v5, v9, -v7
	v_add_f32_e32 v11, v14, v11
	v_add_f32_e32 v7, 0x3e2fbd64, v7
	v_exp_f32_e32 v11, v11
	v_cvt_i32_f32_e32 v13, v13
	v_fma_f32 v9, v5, v7, -v9
	v_add_f32_e32 v9, 0xbe9bff5e, v9
	v_fma_f32 v5, v5, v9, -v7
	s_mov_b32 s14, 0xc2ce8ed0
	v_add_f32_e32 v9, 0x3f2d4275, v5
	v_ldexp_f32 v5, v11, v13
	v_cmp_ngt_f32_e32 vcc, s14, v1
	s_mov_b32 s14, 0x42b17218
	v_cndmask_b32_e32 v5, 0, v5, vcc
	v_mov_b32_e32 v11, 0x7f800000
	v_cmp_nlt_f32_e32 vcc, s14, v1
	v_sub_f32_e32 v7, v9, v7
	v_cndmask_b32_e32 v5, v11, v5, vcc
	v_mul_f32_e32 v7, 0.5, v7
	v_mul_f32_e32 v7, v5, v7
.LBB21_1606:
	s_andn2_saveexec_b64 s[14:15], s[0:1]
	s_cbranch_execz .LBB21_1608
; %bb.1607:
	s_mov_b32 s18, 0x42000000
	v_div_scale_f32 v5, s[0:1], v1, v1, s18
	v_rcp_f32_e32 v7, v5
	v_div_scale_f32 v9, vcc, s18, v1, s18
	s_mov_b32 s0, 0x3fb8aa3b
	v_fma_f32 v11, -v5, v7, 1.0
	v_fmac_f32_e32 v7, v11, v7
	v_mul_f32_e32 v11, v9, v7
	v_fma_f32 v13, -v5, v11, v9
	v_fmac_f32_e32 v11, v13, v7
	v_fma_f32 v5, -v5, v11, v9
	v_div_fmas_f32 v5, v5, v7, v11
	v_div_fixup_f32 v5, v5, v1, s18
	v_add_f32_e32 v5, -2.0, v5
	v_mov_b32_e32 v7, 0xa2b236d3
	v_fmac_f32_e32 v7, 0xa3056dbb, v5
	v_mov_b32_e32 v9, 0x23056dbb
	v_fmac_f32_e32 v9, v5, v7
	v_add_f32_e32 v9, 0x244df0c1, v9
	v_fma_f32 v7, v5, v9, -v7
	v_add_f32_e32 v7, 0x241f9ee8, v7
	v_fma_f32 v9, v5, v7, -v9
	;; [unrolled: 2-line block ×18, first 2 shown]
	v_mul_f32_e32 v11, 0x3fb8aa3b, v1
	v_add_f32_e32 v9, 0x345c003f, v9
	v_rndne_f32_e32 v13, v11
	v_fma_f32 v7, v5, v9, -v7
	v_sub_f32_e32 v14, v11, v13
	v_fma_f32 v11, v1, s0, -v11
	v_add_f32_e32 v7, 0x3642095e, v7
	v_fmac_f32_e32 v11, 0x32a5705f, v1
	v_fma_f32 v9, v5, v7, -v9
	v_add_f32_e32 v11, v14, v11
	v_add_f32_e32 v9, 0x38907d1c, v9
	v_exp_f32_e32 v11, v11
	v_cvt_i32_f32_e32 v13, v13
	v_fma_f32 v7, v5, v9, -v7
	v_add_f32_e32 v7, 0x3b5ccc65, v7
	v_fma_f32 v5, v5, v7, -v9
	s_mov_b32 s0, 0xc2ce8ed0
	v_add_f32_e32 v7, 0x3f4df315, v5
	v_ldexp_f32 v5, v11, v13
	v_cmp_ngt_f32_e32 vcc, s0, v1
	s_mov_b32 s0, 0x42b17218
	v_cndmask_b32_e32 v5, 0, v5, vcc
	v_mov_b32_e32 v11, 0x7f800000
	v_cmp_nlt_f32_e32 vcc, s0, v1
	s_mov_b32 s0, 0xf800000
	v_cndmask_b32_e32 v5, v11, v5, vcc
	v_mul_f32_e32 v11, 0x4f800000, v1
	v_cmp_gt_f32_e32 vcc, s0, v1
	v_cndmask_b32_e32 v11, v1, v11, vcc
	v_sqrt_f32_e32 v13, v11
	v_sub_f32_e32 v7, v7, v9
	v_mul_f32_e32 v7, 0.5, v7
	v_mul_f32_e32 v7, v5, v7
	v_add_u32_e32 v9, -1, v13
	v_fma_f32 v14, -v9, v13, v11
	v_cmp_ge_f32_e64 s[0:1], 0, v14
	v_add_u32_e32 v14, 1, v13
	v_cndmask_b32_e64 v9, v13, v9, s[0:1]
	v_fma_f32 v13, -v14, v13, v11
	v_cmp_lt_f32_e64 s[0:1], 0, v13
	v_cndmask_b32_e64 v9, v9, v14, s[0:1]
	v_mul_f32_e32 v13, 0x37800000, v9
	v_cndmask_b32_e32 v9, v9, v13, vcc
	v_mov_b32_e32 v13, 0x260
	v_cmp_class_f32_e32 vcc, v11, v13
	v_cndmask_b32_e32 v9, v9, v11, vcc
	v_div_scale_f32 v11, s[0:1], v9, v9, v7
	v_rcp_f32_e32 v13, v11
	v_fma_f32 v14, -v11, v13, 1.0
	v_fmac_f32_e32 v13, v14, v13
	v_div_scale_f32 v14, vcc, v7, v9, v7
	v_mul_f32_e32 v15, v14, v13
	v_fma_f32 v16, -v11, v15, v14
	v_fmac_f32_e32 v15, v16, v13
	v_fma_f32 v11, -v11, v15, v14
	v_div_fmas_f32 v11, v11, v13, v15
	v_div_fixup_f32 v7, v11, v9, v7
.LBB21_1608:
	s_or_b64 exec, exec, s[14:15]
	v_fma_f32 v1, v1, v1, -2.0
	v_mov_b32_e32 v9, 0x293fd856
	v_fmac_f32_e32 v9, 0x251e770f, v1
	v_mov_b32_e32 v11, 0xa51e770f
	v_fmac_f32_e32 v11, v1, v9
	v_add_f32_e32 v11, 0x2d3612e2, v11
	v_fma_f32 v9, v1, v11, -v9
	v_add_f32_e32 v9, 0x3102e09b, v9
	v_fma_f32 v11, v1, v9, -v11
	;; [unrolled: 2-line block ×6, first 2 shown]
	v_add_f32_e32 v11, 0x3eb046c4, v11
	s_mov_b32 s0, 0x800000
	v_fma_f32 v1, v1, v11, -v9
	v_mov_b32_e32 v11, 0x4f800000
	v_cmp_gt_f32_e32 vcc, s0, v3
	v_cndmask_b32_e32 v11, 1.0, v11, vcc
	v_mul_f32_e32 v3, v3, v11
	v_log_f32_e32 v3, v3
	v_add_f32_e32 v1, 0xbf090b37, v1
	v_sub_f32_e32 v1, v1, v9
	s_mov_b32 s0, 0x3f317217
	v_mul_f32_e32 v9, 0x3f317217, v3
	v_fma_f32 v11, v3, s0, -v9
	v_fmac_f32_e32 v11, 0x3377d1cf, v3
	s_mov_b32 s0, 0x7f800000
	v_add_f32_e32 v9, v9, v11
	v_cmp_lt_f32_e64 s[0:1], |v3|, s0
	v_cndmask_b32_e64 v3, v3, v9, s[0:1]
	v_mov_b32_e32 v9, 0x41b17218
	v_cndmask_b32_e32 v9, 0, v9, vcc
	v_sub_f32_e32 v3, v3, v9
	v_mul_f32_e32 v3, v3, v7
	v_fma_f32 v1, v1, 0.5, -v3
	v_mul_f32_e32 v14, v5, v1
                                        ; implicit-def: $vgpr1
.LBB21_1609:
	s_andn2_saveexec_b64 s[12:13], s[12:13]
	s_cbranch_execz .LBB21_1611
; %bb.1610:
	s_mov_b32 s14, 0x41000000
	v_div_scale_f32 v3, s[0:1], v1, v1, s14
	v_rcp_f32_e32 v5, v3
	v_div_scale_f32 v7, vcc, s14, v1, s14
	s_mov_b32 s0, 0xf800000
	v_fma_f32 v9, -v3, v5, 1.0
	v_fmac_f32_e32 v5, v9, v5
	v_mul_f32_e32 v9, v7, v5
	v_fma_f32 v11, -v3, v9, v7
	v_fmac_f32_e32 v9, v11, v5
	v_fma_f32 v3, -v3, v9, v7
	v_div_fmas_f32 v3, v3, v5, v9
	v_div_fixup_f32 v3, v3, v1, s14
	v_add_f32_e32 v3, -2.0, v3
	v_mov_b32_e32 v5, 0xa397f665
	v_fmac_f32_e32 v5, 0x22c38d2e, v3
	v_mov_b32_e32 v7, 0xa2c38d2e
	v_fmac_f32_e32 v7, v3, v5
	v_add_f32_e32 v7, 0x24704972, v7
	v_fma_f32 v5, v3, v7, -v5
	v_add_f32_e32 v5, 0xa5417ca4, v5
	v_fma_f32 v7, v3, v5, -v7
	v_add_f32_e32 v7, 0x261edfcb, v7
	v_fma_f32 v5, v3, v7, -v5
	v_add_f32_e32 v5, 0xa7053487, v5
	v_fma_f32 v7, v3, v5, -v7
	v_add_f32_e32 v7, 0x27e46ce2, v7
	v_fma_f32 v5, v3, v7, -v5
	v_add_f32_e32 v5, 0xa8c8a2f6, v5
	v_fma_f32 v7, v3, v5, -v7
	v_add_f32_e32 v7, 0x29b4e276, v7
	v_fma_f32 v5, v3, v7, -v5
	v_add_f32_e32 v5, 0xaaa7c3b9, v5
	v_fma_f32 v7, v3, v5, -v7
	v_add_f32_e32 v7, 0x2ba07d19, v7
	v_fma_f32 v5, v3, v7, -v5
	v_add_f32_e32 v5, 0xac9ed7e2, v5
	v_fma_f32 v7, v3, v5, -v7
	v_add_f32_e32 v7, 0x2da34042, v7
	v_fma_f32 v5, v3, v7, -v5
	v_add_f32_e32 v5, 0xaeaefcaf, v5
	v_fma_f32 v7, v3, v5, -v7
	v_add_f32_e32 v7, 0x2fc4ab64, v7
	v_fma_f32 v5, v3, v7, -v5
	v_add_f32_e32 v5, 0xb0e94eb0, v5
	v_fma_f32 v7, v3, v5, -v7
	v_add_f32_e32 v7, 0x32134d00, v7
	v_fma_f32 v5, v3, v7, -v5
	v_add_f32_e32 v5, 0xb3482aa1, v5
	v_fma_f32 v7, v3, v5, -v7
	v_add_f32_e32 v7, 0x34948acc, v7
	v_fma_f32 v5, v3, v7, -v5
	v_add_f32_e32 v5, 0xb5f5daa4, v5
	v_fma_f32 v7, v3, v5, -v7
	v_add_f32_e32 v7, 0x376a09fe, v7
	v_fma_f32 v5, v3, v7, -v5
	v_add_f32_e32 v5, 0xb906bcbf, v5
	v_fma_f32 v7, v3, v5, -v7
	v_add_f32_e32 v7, 0x3acdc490, v7
	v_fma_f32 v5, v3, v7, -v5
	v_add_f32_e32 v5, 0xbd00cfb9, v5
	v_fma_f32 v3, v3, v5, -v7
	v_mul_f32_e32 v5, 0x4f800000, v1
	v_cmp_gt_f32_e32 vcc, s0, v1
	v_cndmask_b32_e32 v1, v1, v5, vcc
	v_sqrt_f32_e32 v5, v1
	v_add_f32_e32 v3, 0x401c2ded, v3
	v_sub_f32_e32 v3, v3, v7
	v_mul_f32_e32 v3, 0.5, v3
	v_add_u32_e32 v7, -1, v5
	v_fma_f32 v9, -v7, v5, v1
	v_cmp_ge_f32_e64 s[0:1], 0, v9
	v_add_u32_e32 v9, 1, v5
	v_cndmask_b32_e64 v7, v5, v7, s[0:1]
	v_fma_f32 v5, -v9, v5, v1
	v_cmp_lt_f32_e64 s[0:1], 0, v5
	v_cndmask_b32_e64 v5, v7, v9, s[0:1]
	v_mul_f32_e32 v7, 0x37800000, v5
	v_cndmask_b32_e32 v5, v5, v7, vcc
	v_mov_b32_e32 v7, 0x260
	v_cmp_class_f32_e32 vcc, v1, v7
	v_cndmask_b32_e32 v1, v5, v1, vcc
	v_div_scale_f32 v5, s[0:1], v1, v1, v3
	v_rcp_f32_e32 v7, v5
	v_fma_f32 v9, -v5, v7, 1.0
	v_fmac_f32_e32 v7, v9, v7
	v_div_scale_f32 v9, vcc, v3, v1, v3
	v_mul_f32_e32 v11, v9, v7
	v_fma_f32 v13, -v5, v11, v9
	v_fmac_f32_e32 v11, v13, v7
	v_fma_f32 v5, -v5, v11, v9
	v_div_fmas_f32 v5, v5, v7, v11
	v_div_fixup_f32 v14, v5, v1, v3
.LBB21_1611:
	s_or_b64 exec, exec, s[12:13]
.LBB21_1612:
	s_or_b64 exec, exec, s[6:7]
.LBB21_1613:
	s_or_b64 exec, exec, s[4:5]
	v_mov_b32_e32 v1, s11
	v_add_co_u32_e32 v12, vcc, s10, v12
	v_addc_co_u32_e32 v13, vcc, 0, v1, vcc
	v_mov_b32_e32 v1, 11
	v_cmp_lt_i16_sdwa s[0:1], s17, v1 src0_sel:BYTE_0 src1_sel:DWORD
	s_and_b64 vcc, exec, s[0:1]
	s_cbranch_vccnz .LBB21_1620
; %bb.1614:
	v_mov_b32_e32 v1, 25
	v_cmp_gt_i16_sdwa s[0:1], s17, v1 src0_sel:BYTE_0 src1_sel:DWORD
	s_mov_b64 s[4:5], 0
	s_and_b64 vcc, exec, s[0:1]
	s_cbranch_vccz .LBB21_1621
; %bb.1615:
	v_mov_b32_e32 v1, 28
	v_cmp_gt_i16_sdwa s[0:1], s17, v1 src0_sel:BYTE_0 src1_sel:DWORD
	s_and_b64 vcc, exec, s[0:1]
	s_cbranch_vccz .LBB21_1622
; %bb.1616:
	v_mov_b32_e32 v1, 43
	v_cmp_gt_i16_sdwa s[0:1], s17, v1 src0_sel:BYTE_0 src1_sel:DWORD
	;; [unrolled: 5-line block ×3, first 2 shown]
	s_and_b64 vcc, exec, s[0:1]
	s_cbranch_vccz .LBB21_1625
; %bb.1618:
	v_mov_b32_e32 v1, 46
	v_cmp_eq_u16_sdwa s[0:1], s17, v1 src0_sel:BYTE_0 src1_sel:DWORD
	s_mov_b64 s[10:11], 0
	s_and_b64 vcc, exec, s[0:1]
	s_cbranch_vccz .LBB21_1626
; %bb.1619:
	global_load_dword v1, v[12:13], off
	s_mov_b64 s[0:1], 0
	s_mov_b64 s[6:7], -1
	s_waitcnt vmcnt(0)
	v_lshlrev_b32_e32 v1, 16, v1
	s_branch .LBB21_1627
.LBB21_1620:
	s_mov_b64 s[0:1], -1
	s_mov_b64 s[6:7], 0
                                        ; implicit-def: $vgpr1
	s_branch .LBB21_1693
.LBB21_1621:
	s_mov_b64 s[10:11], -1
	s_mov_b64 s[6:7], 0
	s_mov_b64 s[0:1], 0
                                        ; implicit-def: $vgpr1
	s_branch .LBB21_1656
.LBB21_1622:
	s_mov_b64 s[10:11], -1
	s_mov_b64 s[6:7], 0
	s_mov_b64 s[0:1], 0
                                        ; implicit-def: $vgpr1
	s_branch .LBB21_1637
.LBB21_1623:
	s_mov_b64 s[10:11], -1
	s_mov_b64 s[6:7], 0
	s_mov_b64 s[0:1], 0
                                        ; implicit-def: $vgpr1
	s_branch .LBB21_1632
.LBB21_1624:
	s_trap 2
	s_or_b64 s[2:3], s[2:3], exec
                                        ; implicit-def: $vgpr1
	s_cbranch_execz .LBB21_1551
	s_branch .LBB21_1552
.LBB21_1625:
	s_mov_b64 s[10:11], -1
	s_mov_b64 s[6:7], 0
	s_mov_b64 s[0:1], 0
                                        ; implicit-def: $vgpr1
	s_branch .LBB21_1627
.LBB21_1626:
	s_mov_b64 s[0:1], -1
                                        ; implicit-def: $vgpr1
	s_mov_b64 s[6:7], 0
.LBB21_1627:
	s_and_b64 vcc, exec, s[10:11]
	s_cbranch_vccz .LBB21_1631
; %bb.1628:
	v_mov_b32_e32 v1, 44
	v_cmp_eq_u16_sdwa s[0:1], s17, v1 src0_sel:BYTE_0 src1_sel:DWORD
	s_and_b64 vcc, exec, s[0:1]
	s_cbranch_vccz .LBB21_1630
; %bb.1629:
	global_load_ubyte v1, v[12:13], off
	s_movk_i32 s6, 0xff
	v_mov_b32_e32 v3, 0x7f800001
	v_mov_b32_e32 v5, 0x400000
	s_mov_b64 s[0:1], 0
	s_waitcnt vmcnt(0)
	v_lshlrev_b32_e32 v7, 23, v1
	v_cmp_ne_u32_e32 vcc, s6, v1
	v_cndmask_b32_e32 v3, v3, v7, vcc
	v_cmp_ne_u32_e32 vcc, 0, v1
	v_cndmask_b32_e32 v1, v5, v3, vcc
	s_mov_b64 s[6:7], -1
	s_branch .LBB21_1631
.LBB21_1630:
	s_mov_b64 s[0:1], -1
                                        ; implicit-def: $vgpr1
.LBB21_1631:
	s_mov_b64 s[10:11], 0
.LBB21_1632:
	s_and_b64 vcc, exec, s[10:11]
	s_cbranch_vccz .LBB21_1636
; %bb.1633:
	v_mov_b32_e32 v1, 29
	v_cmp_eq_u16_sdwa s[0:1], s17, v1 src0_sel:BYTE_0 src1_sel:DWORD
	s_and_b64 vcc, exec, s[0:1]
	s_cbranch_vccz .LBB21_1635
; %bb.1634:
	global_load_dwordx2 v[16:17], v[12:13], off
	s_mov_b64 s[0:1], 0
	s_mov_b64 s[6:7], -1
	s_mov_b64 s[10:11], 0
	s_waitcnt vmcnt(0)
	v_ffbh_u32_e32 v1, v17
	v_min_u32_e32 v1, 32, v1
	v_lshlrev_b64 v[16:17], v1, v[16:17]
	v_min_u32_e32 v3, 1, v16
	v_or_b32_e32 v3, v17, v3
	v_cvt_f32_u32_e32 v3, v3
	v_sub_u32_e32 v1, 32, v1
	v_ldexp_f32 v1, v3, v1
	s_branch .LBB21_1637
.LBB21_1635:
	s_mov_b64 s[0:1], -1
                                        ; implicit-def: $vgpr1
.LBB21_1636:
	s_mov_b64 s[10:11], 0
.LBB21_1637:
	s_and_b64 vcc, exec, s[10:11]
	s_cbranch_vccz .LBB21_1655
; %bb.1638:
	v_mov_b32_e32 v1, 27
	v_cmp_lt_i16_sdwa s[6:7], s17, v1 src0_sel:BYTE_0 src1_sel:DWORD
	s_and_b64 vcc, exec, s[6:7]
	s_cbranch_vccnz .LBB21_1641
; %bb.1639:
	v_cmp_gt_i16_sdwa s[6:7], s17, v1 src0_sel:BYTE_0 src1_sel:DWORD
	s_and_b64 vcc, exec, s[6:7]
	s_cbranch_vccz .LBB21_1642
; %bb.1640:
	global_load_dword v1, v[12:13], off
	s_mov_b64 s[6:7], 0
	s_waitcnt vmcnt(0)
	v_cvt_f32_u32_e32 v1, v1
	s_branch .LBB21_1643
.LBB21_1641:
	s_mov_b64 s[6:7], -1
                                        ; implicit-def: $vgpr1
	s_branch .LBB21_1646
.LBB21_1642:
	s_mov_b64 s[6:7], -1
                                        ; implicit-def: $vgpr1
.LBB21_1643:
	s_andn2_b64 vcc, exec, s[6:7]
	s_cbranch_vccnz .LBB21_1645
; %bb.1644:
	global_load_ushort v1, v[12:13], off
	s_waitcnt vmcnt(0)
	v_cvt_f32_u32_e32 v1, v1
.LBB21_1645:
	s_mov_b64 s[6:7], 0
.LBB21_1646:
	s_andn2_b64 vcc, exec, s[6:7]
	s_cbranch_vccnz .LBB21_1654
; %bb.1647:
	global_load_ubyte v3, v[12:13], off
	s_movk_i32 s6, 0x7f
                                        ; implicit-def: $sgpr14
	s_waitcnt vmcnt(0)
	v_cmp_lt_i16_e32 vcc, s6, v3
	s_mov_b64 s[6:7], 0
	s_and_saveexec_b64 s[10:11], vcc
	s_xor_b64 s[10:11], exec, s[10:11]
	s_cbranch_execz .LBB21_1668
; %bb.1648:
	s_movk_i32 s6, 0x80
	v_cmp_eq_u16_e32 vcc, s6, v3
	s_mov_b64 s[6:7], -1
                                        ; implicit-def: $sgpr14
	s_and_saveexec_b64 s[12:13], vcc
; %bb.1649:
	s_mov_b32 s14, 0x7f800001
	s_xor_b64 s[6:7], exec, -1
; %bb.1650:
	s_or_b64 exec, exec, s[12:13]
	s_and_b64 s[6:7], s[6:7], exec
	s_or_saveexec_b64 s[10:11], s[10:11]
	v_mov_b32_e32 v1, s14
	s_xor_b64 exec, exec, s[10:11]
	s_cbranch_execnz .LBB21_1669
.LBB21_1651:
	s_or_b64 exec, exec, s[10:11]
	s_and_saveexec_b64 s[10:11], s[6:7]
	s_cbranch_execz .LBB21_1653
.LBB21_1652:
	v_lshlrev_b32_e32 v1, 24, v3
	v_and_b32_e32 v3, 0xffff, v3
	v_and_b32_e32 v5, 7, v3
	v_ffbh_u32_e32 v9, v5
	v_min_u32_e32 v9, 32, v9
	v_subrev_u32_e32 v11, 28, v9
	v_bfe_u32 v7, v3, 3, 4
	v_lshlrev_b32_e32 v3, v11, v3
	v_sub_u32_e32 v9, 29, v9
	v_and_b32_e32 v3, 7, v3
	v_cmp_eq_u32_e32 vcc, 0, v7
	v_cndmask_b32_e32 v7, v7, v9, vcc
	v_cndmask_b32_e32 v3, v5, v3, vcc
	v_mov_b32_e32 v5, 0x3b800000
	v_lshlrev_b32_e32 v3, 20, v3
	v_and_b32_e32 v1, 0x80000000, v1
	v_lshl_add_u32 v5, v7, 23, v5
	v_or3_b32 v1, v1, v5, v3
.LBB21_1653:
	s_or_b64 exec, exec, s[10:11]
.LBB21_1654:
	s_mov_b64 s[6:7], -1
.LBB21_1655:
	s_mov_b64 s[10:11], 0
.LBB21_1656:
	s_and_b64 vcc, exec, s[10:11]
	s_cbranch_vccz .LBB21_1689
; %bb.1657:
	v_mov_b32_e32 v1, 22
	v_cmp_gt_i16_sdwa s[4:5], s17, v1 src0_sel:BYTE_0 src1_sel:DWORD
	s_and_b64 vcc, exec, s[4:5]
	s_cbranch_vccz .LBB21_1667
; %bb.1658:
	v_mov_b32_e32 v1, 24
	v_cmp_lt_i16_sdwa s[4:5], s17, v1 src0_sel:BYTE_0 src1_sel:DWORD
	s_and_b64 vcc, exec, s[4:5]
	s_cbranch_vccnz .LBB21_1670
; %bb.1659:
	v_cmp_gt_i16_sdwa s[4:5], s17, v1 src0_sel:BYTE_0 src1_sel:DWORD
	s_and_b64 vcc, exec, s[4:5]
	s_cbranch_vccz .LBB21_1671
; %bb.1660:
	global_load_ubyte v3, v[12:13], off
	s_movk_i32 s4, 0x7f
                                        ; implicit-def: $sgpr12
	s_waitcnt vmcnt(0)
	v_cmp_lt_i16_e32 vcc, s4, v3
	s_mov_b64 s[4:5], 0
	s_and_saveexec_b64 s[6:7], vcc
	s_xor_b64 s[6:7], exec, s[6:7]
	s_cbranch_execz .LBB21_1683
; %bb.1661:
	s_movk_i32 s4, 0x80
	v_cmp_eq_u16_e32 vcc, s4, v3
	s_mov_b64 s[4:5], -1
                                        ; implicit-def: $sgpr12
	s_and_saveexec_b64 s[10:11], vcc
; %bb.1662:
	s_mov_b32 s12, 0x7f800001
	s_xor_b64 s[4:5], exec, -1
; %bb.1663:
	s_or_b64 exec, exec, s[10:11]
	s_and_b64 s[4:5], s[4:5], exec
	s_or_saveexec_b64 s[6:7], s[6:7]
	v_mov_b32_e32 v1, s12
	s_xor_b64 exec, exec, s[6:7]
	s_cbranch_execnz .LBB21_1684
.LBB21_1664:
	s_or_b64 exec, exec, s[6:7]
	s_and_saveexec_b64 s[6:7], s[4:5]
	s_cbranch_execz .LBB21_1666
.LBB21_1665:
	v_lshlrev_b32_e32 v1, 24, v3
	v_and_b32_e32 v3, 0xffff, v3
	v_and_b32_e32 v5, 3, v3
	v_ffbh_u32_e32 v9, v5
	v_min_u32_e32 v9, 32, v9
	v_subrev_u32_e32 v11, 29, v9
	v_bfe_u32 v7, v3, 2, 5
	v_lshlrev_b32_e32 v3, v11, v3
	v_sub_u32_e32 v9, 30, v9
	v_and_b32_e32 v3, 3, v3
	v_cmp_eq_u32_e32 vcc, 0, v7
	v_cndmask_b32_e32 v7, v7, v9, vcc
	v_cndmask_b32_e32 v3, v5, v3, vcc
	v_mov_b32_e32 v5, 0x37800000
	v_lshlrev_b32_e32 v3, 21, v3
	v_and_b32_e32 v1, 0x80000000, v1
	v_lshl_add_u32 v5, v7, 23, v5
	v_or3_b32 v1, v1, v5, v3
.LBB21_1666:
	s_or_b64 exec, exec, s[6:7]
	s_mov_b64 s[4:5], 0
	s_branch .LBB21_1672
.LBB21_1667:
	s_mov_b64 s[4:5], -1
                                        ; implicit-def: $vgpr1
	s_branch .LBB21_1678
.LBB21_1668:
	s_or_saveexec_b64 s[10:11], s[10:11]
	v_mov_b32_e32 v1, s14
	s_xor_b64 exec, exec, s[10:11]
	s_cbranch_execz .LBB21_1651
.LBB21_1669:
	v_cmp_ne_u16_e32 vcc, 0, v3
	s_andn2_b64 s[6:7], s[6:7], exec
	s_and_b64 s[12:13], vcc, exec
	v_mov_b32_e32 v1, 0
	s_or_b64 s[6:7], s[6:7], s[12:13]
	s_or_b64 exec, exec, s[10:11]
	s_and_saveexec_b64 s[10:11], s[6:7]
	s_cbranch_execnz .LBB21_1652
	s_branch .LBB21_1653
.LBB21_1670:
	s_mov_b64 s[4:5], -1
                                        ; implicit-def: $vgpr1
	s_branch .LBB21_1675
.LBB21_1671:
	s_mov_b64 s[4:5], -1
                                        ; implicit-def: $vgpr1
.LBB21_1672:
	s_and_b64 vcc, exec, s[4:5]
	s_cbranch_vccz .LBB21_1674
; %bb.1673:
	global_load_ubyte v1, v[12:13], off
	s_mov_b32 s4, 0x7f800000
	s_waitcnt vmcnt(0)
	v_lshlrev_b32_e32 v1, 24, v1
	v_and_b32_e32 v3, 0x7f000000, v1
	v_ffbh_u32_e32 v5, v3
	v_min_u32_e32 v5, 32, v5
	v_sub_u32_e64 v5, v5, 4 clamp
	v_lshlrev_b32_e32 v9, v5, v3
	v_lshlrev_b32_e32 v5, 23, v5
	v_lshrrev_b32_e32 v9, 4, v9
	v_add_u32_e32 v7, 0x1000000, v3
	v_sub_u32_e32 v5, v9, v5
	v_ashrrev_i32_e32 v7, 8, v7
	v_add_u32_e32 v5, 0x3c000000, v5
	v_and_or_b32 v5, v7, s4, v5
	v_cmp_ne_u32_e32 vcc, 0, v3
	v_cndmask_b32_e32 v3, 0, v5, vcc
	s_brev_b32 s4, 1
	v_and_or_b32 v1, v1, s4, v3
.LBB21_1674:
	s_mov_b64 s[4:5], 0
.LBB21_1675:
	s_andn2_b64 vcc, exec, s[4:5]
	s_cbranch_vccnz .LBB21_1677
; %bb.1676:
	global_load_ubyte v1, v[12:13], off
	s_movk_i32 s4, 0x7f00
	s_brev_b32 s5, 16
	s_waitcnt vmcnt(0)
	v_lshlrev_b16_e32 v3, 8, v1
	v_lshlrev_b32_e32 v1, 25, v1
	v_lshrrev_b32_e32 v5, 4, v1
	v_and_or_b32 v7, v3, s4, 0.5
	v_or_b32_e32 v5, 0x70000000, v5
	v_add_f32_e32 v7, -0.5, v7
	v_mul_f32_e32 v5, 0x7800000, v5
	v_cmp_gt_u32_e32 vcc, s5, v1
	v_bfe_i32 v3, v3, 0, 16
	v_cndmask_b32_e32 v1, v5, v7, vcc
	s_brev_b32 s4, 1
	v_and_or_b32 v1, v3, s4, v1
.LBB21_1677:
	s_mov_b64 s[4:5], 0
	s_mov_b64 s[6:7], -1
.LBB21_1678:
	s_andn2_b64 vcc, exec, s[4:5]
	s_mov_b64 s[4:5], 0
	s_cbranch_vccnz .LBB21_1689
; %bb.1679:
	v_mov_b32_e32 v1, 14
	v_cmp_gt_i16_sdwa s[4:5], s17, v1 src0_sel:BYTE_0 src1_sel:DWORD
	s_and_b64 vcc, exec, s[4:5]
	s_cbranch_vccz .LBB21_1682
; %bb.1680:
	v_mov_b32_e32 v1, 15
	v_cmp_eq_u16_sdwa s[0:1], s17, v1 src0_sel:BYTE_0 src1_sel:DWORD
	s_and_b64 vcc, exec, s[0:1]
	s_cbranch_vccz .LBB21_1685
; %bb.1681:
	global_load_ushort v1, v[12:13], off
	s_mov_b64 s[0:1], 0
	s_mov_b64 s[6:7], -1
	s_waitcnt vmcnt(0)
	v_lshlrev_b32_e32 v1, 16, v1
	s_branch .LBB21_1686
.LBB21_1682:
	s_mov_b64 s[10:11], -1
                                        ; implicit-def: $vgpr1
	s_branch .LBB21_1687
.LBB21_1683:
	s_or_saveexec_b64 s[6:7], s[6:7]
	v_mov_b32_e32 v1, s12
	s_xor_b64 exec, exec, s[6:7]
	s_cbranch_execz .LBB21_1664
.LBB21_1684:
	v_cmp_ne_u16_e32 vcc, 0, v3
	s_andn2_b64 s[4:5], s[4:5], exec
	s_and_b64 s[10:11], vcc, exec
	v_mov_b32_e32 v1, 0
	s_or_b64 s[4:5], s[4:5], s[10:11]
	s_or_b64 exec, exec, s[6:7]
	s_and_saveexec_b64 s[6:7], s[4:5]
	s_cbranch_execnz .LBB21_1665
	s_branch .LBB21_1666
.LBB21_1685:
	s_mov_b64 s[0:1], -1
                                        ; implicit-def: $vgpr1
.LBB21_1686:
	s_mov_b64 s[10:11], 0
.LBB21_1687:
	s_mov_b64 s[4:5], 0
	s_and_b64 vcc, exec, s[10:11]
	s_cbranch_vccz .LBB21_1689
; %bb.1688:
	v_mov_b32_e32 v1, 11
	v_cmp_ne_u16_sdwa s[0:1], s17, v1 src0_sel:BYTE_0 src1_sel:DWORD
	s_mov_b64 s[4:5], -1
                                        ; implicit-def: $vgpr1
.LBB21_1689:
	s_and_b64 vcc, exec, s[0:1]
	s_cbranch_vccnz .LBB21_1811
; %bb.1690:
	s_andn2_b64 vcc, exec, s[4:5]
	s_cbranch_vccnz .LBB21_1692
.LBB21_1691:
	global_load_ubyte v1, v[12:13], off
	s_mov_b64 s[6:7], -1
	s_waitcnt vmcnt(0)
	v_cmp_ne_u16_e32 vcc, 0, v1
	v_cndmask_b32_e64 v1, 0, 1.0, vcc
.LBB21_1692:
	s_mov_b64 s[0:1], 0
.LBB21_1693:
	s_and_b64 vcc, exec, s[0:1]
	s_cbranch_vccz .LBB21_1742
; %bb.1694:
	v_mov_b32_e32 v1, 5
	v_cmp_lt_i16_sdwa s[0:1], s17, v1 src0_sel:BYTE_0 src1_sel:DWORD
	s_and_b64 vcc, exec, s[0:1]
	s_cbranch_vccnz .LBB21_1699
; %bb.1695:
	v_mov_b32_e32 v1, 8
	v_cmp_lt_i16_sdwa s[0:1], s17, v1 src0_sel:BYTE_0 src1_sel:DWORD
	s_and_b64 vcc, exec, s[0:1]
	s_cbranch_vccnz .LBB21_1700
	;; [unrolled: 5-line block ×3, first 2 shown]
; %bb.1697:
	v_cmp_gt_i16_sdwa s[0:1], s17, v1 src0_sel:BYTE_0 src1_sel:DWORD
	s_and_b64 vcc, exec, s[0:1]
	s_cbranch_vccz .LBB21_1702
; %bb.1698:
	global_load_dwordx2 v[16:17], v[12:13], off
	s_mov_b64 s[0:1], 0
	s_waitcnt vmcnt(0)
	v_cvt_f32_f64_e32 v1, v[16:17]
	s_branch .LBB21_1703
.LBB21_1699:
	s_mov_b64 s[0:1], -1
                                        ; implicit-def: $vgpr1
	s_branch .LBB21_1721
.LBB21_1700:
	s_mov_b64 s[0:1], -1
                                        ; implicit-def: $vgpr1
	s_branch .LBB21_1709
.LBB21_1701:
	s_mov_b64 s[0:1], -1
                                        ; implicit-def: $vgpr1
	s_branch .LBB21_1706
.LBB21_1702:
	s_mov_b64 s[0:1], -1
                                        ; implicit-def: $vgpr1
.LBB21_1703:
	s_andn2_b64 vcc, exec, s[0:1]
	s_cbranch_vccnz .LBB21_1705
; %bb.1704:
	global_load_dword v1, v[12:13], off
.LBB21_1705:
	s_mov_b64 s[0:1], 0
.LBB21_1706:
	s_andn2_b64 vcc, exec, s[0:1]
	s_cbranch_vccnz .LBB21_1708
; %bb.1707:
	global_load_dword v1, v[12:13], off
	s_waitcnt vmcnt(0)
	v_cvt_f32_f16_e32 v1, v1
.LBB21_1708:
	s_mov_b64 s[0:1], 0
.LBB21_1709:
	s_andn2_b64 vcc, exec, s[0:1]
	s_cbranch_vccnz .LBB21_1720
; %bb.1710:
	s_waitcnt vmcnt(0)
	v_mov_b32_e32 v1, 6
	v_cmp_lt_i16_sdwa s[0:1], s17, v1 src0_sel:BYTE_0 src1_sel:DWORD
	s_and_b64 vcc, exec, s[0:1]
	s_cbranch_vccnz .LBB21_1713
; %bb.1711:
	v_cmp_gt_i16_sdwa s[0:1], s17, v1 src0_sel:BYTE_0 src1_sel:DWORD
	s_and_b64 vcc, exec, s[0:1]
	s_cbranch_vccz .LBB21_1714
; %bb.1712:
	global_load_dwordx2 v[16:17], v[12:13], off
	s_mov_b64 s[0:1], 0
	s_waitcnt vmcnt(0)
	v_cvt_f32_f64_e32 v1, v[16:17]
	s_branch .LBB21_1715
.LBB21_1713:
	s_mov_b64 s[0:1], -1
                                        ; implicit-def: $vgpr1
	s_branch .LBB21_1718
.LBB21_1714:
	s_mov_b64 s[0:1], -1
                                        ; implicit-def: $vgpr1
.LBB21_1715:
	s_andn2_b64 vcc, exec, s[0:1]
	s_cbranch_vccnz .LBB21_1717
; %bb.1716:
	global_load_dword v1, v[12:13], off
.LBB21_1717:
	s_mov_b64 s[0:1], 0
.LBB21_1718:
	s_andn2_b64 vcc, exec, s[0:1]
	s_cbranch_vccnz .LBB21_1720
; %bb.1719:
	global_load_ushort v1, v[12:13], off
	s_waitcnt vmcnt(0)
	v_cvt_f32_f16_e32 v1, v1
.LBB21_1720:
	s_mov_b64 s[0:1], 0
.LBB21_1721:
	s_andn2_b64 vcc, exec, s[0:1]
	s_cbranch_vccnz .LBB21_1741
; %bb.1722:
	s_waitcnt vmcnt(0)
	v_mov_b32_e32 v1, 2
	v_cmp_lt_i16_sdwa s[0:1], s17, v1 src0_sel:BYTE_0 src1_sel:DWORD
	s_and_b64 vcc, exec, s[0:1]
	s_cbranch_vccnz .LBB21_1726
; %bb.1723:
	v_mov_b32_e32 v1, 3
	v_cmp_lt_i16_sdwa s[0:1], s17, v1 src0_sel:BYTE_0 src1_sel:DWORD
	s_and_b64 vcc, exec, s[0:1]
	s_cbranch_vccnz .LBB21_1727
; %bb.1724:
	v_cmp_gt_i16_sdwa s[0:1], s17, v1 src0_sel:BYTE_0 src1_sel:DWORD
	s_and_b64 vcc, exec, s[0:1]
	s_cbranch_vccz .LBB21_1728
; %bb.1725:
	global_load_dwordx2 v[16:17], v[12:13], off
	s_mov_b64 s[0:1], 0
	s_waitcnt vmcnt(0)
	v_xor_b32_e32 v3, v16, v17
	v_ffbh_i32_e32 v1, v17
	v_ashrrev_i32_e32 v3, 31, v3
	v_add_u32_e32 v1, -1, v1
	v_add_u32_e32 v3, 32, v3
	v_min_u32_e32 v1, v1, v3
	v_lshlrev_b64 v[16:17], v1, v[16:17]
	v_min_u32_e32 v3, 1, v16
	v_or_b32_e32 v3, v17, v3
	v_cvt_f32_i32_e32 v3, v3
	v_sub_u32_e32 v1, 32, v1
	v_ldexp_f32 v1, v3, v1
	s_branch .LBB21_1729
.LBB21_1726:
	s_mov_b64 s[0:1], -1
                                        ; implicit-def: $vgpr1
	s_branch .LBB21_1735
.LBB21_1727:
	s_mov_b64 s[0:1], -1
                                        ; implicit-def: $vgpr1
	s_branch .LBB21_1732
.LBB21_1728:
	s_mov_b64 s[0:1], -1
                                        ; implicit-def: $vgpr1
.LBB21_1729:
	s_andn2_b64 vcc, exec, s[0:1]
	s_cbranch_vccnz .LBB21_1731
; %bb.1730:
	global_load_dword v1, v[12:13], off
	s_waitcnt vmcnt(0)
	v_cvt_f32_i32_e32 v1, v1
.LBB21_1731:
	s_mov_b64 s[0:1], 0
.LBB21_1732:
	s_andn2_b64 vcc, exec, s[0:1]
	s_cbranch_vccnz .LBB21_1734
; %bb.1733:
	global_load_sshort v1, v[12:13], off
	s_waitcnt vmcnt(0)
	v_cvt_f32_i32_e32 v1, v1
.LBB21_1734:
	s_mov_b64 s[0:1], 0
.LBB21_1735:
	s_andn2_b64 vcc, exec, s[0:1]
	s_cbranch_vccnz .LBB21_1741
; %bb.1736:
	v_mov_b32_e32 v1, 0
	v_cmp_gt_i16_sdwa s[0:1], s17, v1 src0_sel:BYTE_0 src1_sel:DWORD
	s_and_b64 vcc, exec, s[0:1]
	s_cbranch_vccz .LBB21_1738
; %bb.1737:
	global_load_sbyte v1, v[12:13], off
	s_mov_b64 s[0:1], 0
	s_waitcnt vmcnt(0)
	v_cvt_f32_i32_e32 v1, v1
	s_branch .LBB21_1739
.LBB21_1738:
	s_mov_b64 s[0:1], -1
                                        ; implicit-def: $vgpr1
.LBB21_1739:
	s_andn2_b64 vcc, exec, s[0:1]
	s_cbranch_vccnz .LBB21_1741
; %bb.1740:
	global_load_ubyte v1, v[12:13], off
	s_waitcnt vmcnt(0)
	v_cvt_f32_ubyte0_e32 v1, v1
.LBB21_1741:
	s_mov_b64 s[6:7], -1
.LBB21_1742:
	s_andn2_b64 vcc, exec, s[6:7]
	s_cbranch_vccnz .LBB21_1762
; %bb.1743:
	s_waitcnt vmcnt(0)
	v_cmp_neq_f32_e32 vcc, 0, v1
	v_mov_b32_e32 v12, 0x7f800000
	s_and_saveexec_b64 s[4:5], vcc
	s_cbranch_execz .LBB21_1755
; %bb.1744:
	v_cmp_ngt_f32_e32 vcc, 0, v1
	v_mov_b32_e32 v12, 0x7fc00000
	s_and_saveexec_b64 s[6:7], vcc
	s_cbranch_execz .LBB21_1754
; %bb.1745:
	v_cmp_ge_f32_e32 vcc, 2.0, v1
                                        ; implicit-def: $vgpr12
	s_and_saveexec_b64 s[0:1], vcc
	s_xor_b64 s[10:11], exec, s[0:1]
	s_cbranch_execz .LBB21_1751
; %bb.1746:
	s_mov_b32 s0, 0x41000000
	v_mul_f32_e32 v3, 0.5, v1
	v_cmp_ge_f32_e32 vcc, s0, v1
                                        ; implicit-def: $vgpr7
                                        ; implicit-def: $vgpr5
	s_and_saveexec_b64 s[0:1], vcc
	s_xor_b64 s[0:1], exec, s[0:1]
	s_cbranch_execz .LBB21_1748
; %bb.1747:
	v_add_f32_e32 v5, -2.0, v3
	v_mov_b32_e32 v7, 0x24199b15
	v_fmac_f32_e32 v7, 0xa2a2e5b9, v5
	v_mov_b32_e32 v9, 0x22a2e5b9
	v_fmac_f32_e32 v9, v5, v7
	v_add_f32_e32 v9, 0xa58c275c, v9
	v_fma_f32 v7, v5, v9, -v7
	v_add_f32_e32 v7, 0x26f736c5, v7
	v_fma_f32 v9, v5, v7, -v9
	;; [unrolled: 2-line block ×23, first 2 shown]
	v_mul_f32_e32 v11, 0x3fb8aa3b, v1
	v_add_f32_e32 v7, 0x3d49f456, v7
	s_mov_b32 s12, 0x3fb8aa3b
	v_rndne_f32_e32 v12, v11
	v_fma_f32 v9, v5, v7, -v9
	v_sub_f32_e32 v13, v11, v12
	v_fma_f32 v11, v1, s12, -v11
	v_add_f32_e32 v9, 0xbdc25b82, v9
	v_fmac_f32_e32 v11, 0x32a5705f, v1
	v_fma_f32 v7, v5, v9, -v7
	v_add_f32_e32 v11, v13, v11
	v_add_f32_e32 v7, 0x3e2fbd64, v7
	v_exp_f32_e32 v11, v11
	v_cvt_i32_f32_e32 v12, v12
	v_fma_f32 v9, v5, v7, -v9
	v_add_f32_e32 v9, 0xbe9bff5e, v9
	v_fma_f32 v5, v5, v9, -v7
	s_mov_b32 s12, 0xc2ce8ed0
	v_add_f32_e32 v9, 0x3f2d4275, v5
	v_ldexp_f32 v5, v11, v12
	v_cmp_ngt_f32_e32 vcc, s12, v1
	s_mov_b32 s12, 0x42b17218
	v_cndmask_b32_e32 v5, 0, v5, vcc
	v_mov_b32_e32 v11, 0x7f800000
	v_cmp_nlt_f32_e32 vcc, s12, v1
	v_sub_f32_e32 v7, v9, v7
	v_cndmask_b32_e32 v5, v11, v5, vcc
	v_mul_f32_e32 v7, 0.5, v7
	v_mul_f32_e32 v7, v5, v7
.LBB21_1748:
	s_andn2_saveexec_b64 s[12:13], s[0:1]
	s_cbranch_execz .LBB21_1750
; %bb.1749:
	s_mov_b32 s14, 0x42000000
	v_div_scale_f32 v5, s[0:1], v1, v1, s14
	v_rcp_f32_e32 v7, v5
	v_div_scale_f32 v9, vcc, s14, v1, s14
	s_mov_b32 s0, 0x3fb8aa3b
	v_fma_f32 v11, -v5, v7, 1.0
	v_fmac_f32_e32 v7, v11, v7
	v_mul_f32_e32 v11, v9, v7
	v_fma_f32 v12, -v5, v11, v9
	v_fmac_f32_e32 v11, v12, v7
	v_fma_f32 v5, -v5, v11, v9
	v_div_fmas_f32 v5, v5, v7, v11
	v_div_fixup_f32 v5, v5, v1, s14
	v_add_f32_e32 v5, -2.0, v5
	v_mov_b32_e32 v7, 0xa2b236d3
	v_fmac_f32_e32 v7, 0xa3056dbb, v5
	v_mov_b32_e32 v9, 0x23056dbb
	v_fmac_f32_e32 v9, v5, v7
	v_add_f32_e32 v9, 0x244df0c1, v9
	v_fma_f32 v7, v5, v9, -v7
	v_add_f32_e32 v7, 0x241f9ee8, v7
	v_fma_f32 v9, v5, v7, -v9
	v_add_f32_e32 v9, 0xa5a3005d, v9
	v_fma_f32 v7, v5, v9, -v7
	v_add_f32_e32 v7, 0xa5c5773f, v7
	v_fma_f32 v9, v5, v7, -v9
	v_add_f32_e32 v9, 0x26ff73ed, v9
	v_fma_f32 v7, v5, v9, -v7
	v_add_f32_e32 v7, 0x2789548d, v7
	v_fma_f32 v9, v5, v7, -v9
	v_add_f32_e32 v9, 0xa82c1ff4, v9
	v_fma_f32 v7, v5, v9, -v7
	v_add_f32_e32 v7, 0xa93aecce, v7
	v_fma_f32 v9, v5, v7, -v9
	v_add_f32_e32 v9, 0x288ab7f8, v9
	v_fma_f32 v7, v5, v9, -v7
	v_add_f32_e32 v7, 0x2ad8e463, v7
	v_fma_f32 v9, v5, v7, -v9
	v_add_f32_e32 v9, 0x2b4a1a40, v9
	v_fma_f32 v7, v5, v9, -v7
	v_add_f32_e32 v7, 0xabfc8218, v7
	v_fma_f32 v9, v5, v7, -v9
	v_add_f32_e32 v9, 0xad687eba, v9
	v_fma_f32 v7, v5, v9, -v7
	v_add_f32_e32 v7, 0xae0a88e8, v7
	v_fma_f32 v9, v5, v7, -v9
	v_add_f32_e32 v9, 0x2d5127f5, v9
	v_fma_f32 v7, v5, v9, -v7
	v_add_f32_e32 v7, 0x3007ce66, v7
	v_fma_f32 v9, v5, v7, -v9
	v_add_f32_e32 v9, 0x31696325, v9
	v_fma_f32 v7, v5, v9, -v7
	v_add_f32_e32 v7, 0x32c2b494, v7
	v_fma_f32 v9, v5, v7, -v9
	v_mul_f32_e32 v11, 0x3fb8aa3b, v1
	v_add_f32_e32 v9, 0x345c003f, v9
	v_rndne_f32_e32 v12, v11
	v_fma_f32 v7, v5, v9, -v7
	v_sub_f32_e32 v13, v11, v12
	v_fma_f32 v11, v1, s0, -v11
	v_add_f32_e32 v7, 0x3642095e, v7
	v_fmac_f32_e32 v11, 0x32a5705f, v1
	v_fma_f32 v9, v5, v7, -v9
	v_add_f32_e32 v11, v13, v11
	v_add_f32_e32 v9, 0x38907d1c, v9
	v_exp_f32_e32 v11, v11
	v_cvt_i32_f32_e32 v12, v12
	v_fma_f32 v7, v5, v9, -v7
	v_add_f32_e32 v7, 0x3b5ccc65, v7
	v_fma_f32 v5, v5, v7, -v9
	s_mov_b32 s0, 0xc2ce8ed0
	v_add_f32_e32 v7, 0x3f4df315, v5
	v_ldexp_f32 v5, v11, v12
	v_cmp_ngt_f32_e32 vcc, s0, v1
	s_mov_b32 s0, 0x42b17218
	v_cndmask_b32_e32 v5, 0, v5, vcc
	v_mov_b32_e32 v11, 0x7f800000
	v_cmp_nlt_f32_e32 vcc, s0, v1
	s_mov_b32 s0, 0xf800000
	v_cndmask_b32_e32 v5, v11, v5, vcc
	v_mul_f32_e32 v11, 0x4f800000, v1
	v_cmp_gt_f32_e32 vcc, s0, v1
	v_cndmask_b32_e32 v11, v1, v11, vcc
	v_sqrt_f32_e32 v12, v11
	v_sub_f32_e32 v7, v7, v9
	v_mul_f32_e32 v7, 0.5, v7
	v_mul_f32_e32 v7, v5, v7
	v_add_u32_e32 v9, -1, v12
	v_fma_f32 v13, -v9, v12, v11
	v_cmp_ge_f32_e64 s[0:1], 0, v13
	v_add_u32_e32 v13, 1, v12
	v_cndmask_b32_e64 v9, v12, v9, s[0:1]
	v_fma_f32 v12, -v13, v12, v11
	v_cmp_lt_f32_e64 s[0:1], 0, v12
	v_cndmask_b32_e64 v9, v9, v13, s[0:1]
	v_mul_f32_e32 v12, 0x37800000, v9
	v_cndmask_b32_e32 v9, v9, v12, vcc
	v_mov_b32_e32 v12, 0x260
	v_cmp_class_f32_e32 vcc, v11, v12
	v_cndmask_b32_e32 v9, v9, v11, vcc
	v_div_scale_f32 v11, s[0:1], v9, v9, v7
	v_rcp_f32_e32 v12, v11
	v_fma_f32 v13, -v11, v12, 1.0
	v_fmac_f32_e32 v12, v13, v12
	v_div_scale_f32 v13, vcc, v7, v9, v7
	v_mul_f32_e32 v15, v13, v12
	v_fma_f32 v16, -v11, v15, v13
	v_fmac_f32_e32 v15, v16, v12
	v_fma_f32 v11, -v11, v15, v13
	v_div_fmas_f32 v11, v11, v12, v15
	v_div_fixup_f32 v7, v11, v9, v7
.LBB21_1750:
	s_or_b64 exec, exec, s[12:13]
	v_fma_f32 v1, v1, v1, -2.0
	v_mov_b32_e32 v9, 0x293fd856
	v_fmac_f32_e32 v9, 0x251e770f, v1
	v_mov_b32_e32 v11, 0xa51e770f
	v_fmac_f32_e32 v11, v1, v9
	v_add_f32_e32 v11, 0x2d3612e2, v11
	v_fma_f32 v9, v1, v11, -v9
	v_add_f32_e32 v9, 0x3102e09b, v9
	v_fma_f32 v11, v1, v9, -v11
	;; [unrolled: 2-line block ×6, first 2 shown]
	v_add_f32_e32 v11, 0x3eb046c4, v11
	s_mov_b32 s0, 0x800000
	v_fma_f32 v1, v1, v11, -v9
	v_mov_b32_e32 v11, 0x4f800000
	v_cmp_gt_f32_e32 vcc, s0, v3
	v_cndmask_b32_e32 v11, 1.0, v11, vcc
	v_mul_f32_e32 v3, v3, v11
	v_log_f32_e32 v3, v3
	v_add_f32_e32 v1, 0xbf090b37, v1
	v_sub_f32_e32 v1, v1, v9
	s_mov_b32 s0, 0x3f317217
	v_mul_f32_e32 v9, 0x3f317217, v3
	v_fma_f32 v11, v3, s0, -v9
	v_fmac_f32_e32 v11, 0x3377d1cf, v3
	s_mov_b32 s0, 0x7f800000
	v_add_f32_e32 v9, v9, v11
	v_cmp_lt_f32_e64 s[0:1], |v3|, s0
	v_cndmask_b32_e64 v3, v3, v9, s[0:1]
	v_mov_b32_e32 v9, 0x41b17218
	v_cndmask_b32_e32 v9, 0, v9, vcc
	v_sub_f32_e32 v3, v3, v9
	v_mul_f32_e32 v3, v3, v7
	v_fma_f32 v1, v1, 0.5, -v3
	v_mul_f32_e32 v12, v5, v1
                                        ; implicit-def: $vgpr1
.LBB21_1751:
	s_andn2_saveexec_b64 s[10:11], s[10:11]
	s_cbranch_execz .LBB21_1753
; %bb.1752:
	s_mov_b32 s12, 0x41000000
	v_div_scale_f32 v3, s[0:1], v1, v1, s12
	v_rcp_f32_e32 v5, v3
	v_div_scale_f32 v7, vcc, s12, v1, s12
	s_mov_b32 s0, 0xf800000
	v_fma_f32 v9, -v3, v5, 1.0
	v_fmac_f32_e32 v5, v9, v5
	v_mul_f32_e32 v9, v7, v5
	v_fma_f32 v11, -v3, v9, v7
	v_fmac_f32_e32 v9, v11, v5
	v_fma_f32 v3, -v3, v9, v7
	v_div_fmas_f32 v3, v3, v5, v9
	v_div_fixup_f32 v3, v3, v1, s12
	v_add_f32_e32 v3, -2.0, v3
	v_mov_b32_e32 v5, 0xa397f665
	v_fmac_f32_e32 v5, 0x22c38d2e, v3
	v_mov_b32_e32 v7, 0xa2c38d2e
	v_fmac_f32_e32 v7, v3, v5
	v_add_f32_e32 v7, 0x24704972, v7
	v_fma_f32 v5, v3, v7, -v5
	v_add_f32_e32 v5, 0xa5417ca4, v5
	v_fma_f32 v7, v3, v5, -v7
	;; [unrolled: 2-line block ×22, first 2 shown]
	v_mul_f32_e32 v5, 0x4f800000, v1
	v_cmp_gt_f32_e32 vcc, s0, v1
	v_cndmask_b32_e32 v1, v1, v5, vcc
	v_sqrt_f32_e32 v5, v1
	v_add_f32_e32 v3, 0x401c2ded, v3
	v_sub_f32_e32 v3, v3, v7
	v_mul_f32_e32 v3, 0.5, v3
	v_add_u32_e32 v7, -1, v5
	v_fma_f32 v9, -v7, v5, v1
	v_cmp_ge_f32_e64 s[0:1], 0, v9
	v_add_u32_e32 v9, 1, v5
	v_cndmask_b32_e64 v7, v5, v7, s[0:1]
	v_fma_f32 v5, -v9, v5, v1
	v_cmp_lt_f32_e64 s[0:1], 0, v5
	v_cndmask_b32_e64 v5, v7, v9, s[0:1]
	v_mul_f32_e32 v7, 0x37800000, v5
	v_cndmask_b32_e32 v5, v5, v7, vcc
	v_mov_b32_e32 v7, 0x260
	v_cmp_class_f32_e32 vcc, v1, v7
	v_cndmask_b32_e32 v1, v5, v1, vcc
	v_div_scale_f32 v5, s[0:1], v1, v1, v3
	v_rcp_f32_e32 v7, v5
	v_fma_f32 v9, -v5, v7, 1.0
	v_fmac_f32_e32 v7, v9, v7
	v_div_scale_f32 v9, vcc, v3, v1, v3
	v_mul_f32_e32 v11, v9, v7
	v_fma_f32 v12, -v5, v11, v9
	v_fmac_f32_e32 v11, v12, v7
	v_fma_f32 v5, -v5, v11, v9
	v_div_fmas_f32 v5, v5, v7, v11
	v_div_fixup_f32 v12, v5, v1, v3
.LBB21_1753:
	s_or_b64 exec, exec, s[10:11]
.LBB21_1754:
	s_or_b64 exec, exec, s[6:7]
.LBB21_1755:
	s_or_b64 exec, exec, s[4:5]
	v_mov_b32_e32 v1, s9
	v_add_co_u32_e32 v6, vcc, s8, v6
	s_lshr_b32 s14, s16, 8
	v_addc_co_u32_e32 v7, vcc, 0, v1, vcc
	v_mov_b32_e32 v1, 11
	v_cmp_lt_i16_sdwa s[0:1], s14, v1 src0_sel:BYTE_0 src1_sel:DWORD
	s_and_b64 vcc, exec, s[0:1]
	s_cbranch_vccnz .LBB21_1808
; %bb.1756:
	v_mov_b32_e32 v1, 25
	v_cmp_gt_i16_sdwa s[0:1], s14, v1 src0_sel:BYTE_0 src1_sel:DWORD
	s_mov_b64 s[10:11], -1
	s_mov_b64 s[4:5], 0
	s_and_b64 vcc, exec, s[0:1]
	s_mov_b64 s[6:7], 0
	s_mov_b64 s[0:1], 0
	s_cbranch_vccz .LBB21_1840
; %bb.1757:
	v_mov_b32_e32 v1, 28
	v_cmp_gt_i16_sdwa s[0:1], s14, v1 src0_sel:BYTE_0 src1_sel:DWORD
	s_and_b64 vcc, exec, s[0:1]
	s_cbranch_vccz .LBB21_1809
; %bb.1758:
	v_mov_b32_e32 v1, 43
	v_cmp_gt_i16_sdwa s[0:1], s14, v1 src0_sel:BYTE_0 src1_sel:DWORD
	s_and_b64 vcc, exec, s[0:1]
	;; [unrolled: 5-line block ×3, first 2 shown]
	s_cbranch_vccz .LBB21_1812
; %bb.1760:
	v_mov_b32_e32 v1, 46
	v_cmp_eq_u16_sdwa s[6:7], s14, v1 src0_sel:BYTE_0 src1_sel:DWORD
	s_mov_b64 s[0:1], -1
	s_mov_b64 s[10:11], 0
	s_and_b64 vcc, exec, s[6:7]
	s_mov_b64 s[6:7], 0
	s_cbranch_vccz .LBB21_1813
; %bb.1761:
	v_bfe_u32 v1, v8, 16, 1
	s_movk_i32 s0, 0x7fff
	v_add3_u32 v1, v8, v1, s0
	v_lshrrev_b32_e32 v1, 16, v1
	v_mov_b32_e32 v3, 0x7fc0
	v_cmp_o_f32_e32 vcc, v8, v8
	v_cndmask_b32_e32 v1, v3, v1, vcc
	global_store_dword v[6:7], v1, off
	s_mov_b64 s[0:1], 0
	s_mov_b64 s[6:7], -1
	s_branch .LBB21_1813
.LBB21_1762:
	s_mov_b64 s[0:1], 0
                                        ; implicit-def: $vgpr0_vgpr1
                                        ; implicit-def: $vgpr2
                                        ; implicit-def: $vgpr12
.LBB21_1763:
	s_mov_b64 s[4:5], 0
.LBB21_1764:
	s_and_b64 s[6:7], s[4:5], exec
	s_andn2_b64 s[4:5], s[28:29], exec
	s_and_b64 s[2:3], s[2:3], exec
	s_and_b64 s[0:1], s[0:1], exec
	s_or_b64 s[28:29], s[4:5], s[2:3]
.LBB21_1765:
	s_or_b64 exec, exec, s[30:31]
	s_and_saveexec_b64 s[2:3], s[28:29]
	s_cbranch_execz .LBB21_1768
; %bb.1766:
	; divergent unreachable
	s_or_b64 exec, exec, s[2:3]
	s_and_saveexec_b64 s[2:3], s[6:7]
	s_xor_b64 s[2:3], exec, s[2:3]
	s_cbranch_execnz .LBB21_1769
.LBB21_1767:
	s_or_b64 exec, exec, s[2:3]
	s_and_saveexec_b64 s[2:3], s[0:1]
	s_cbranch_execnz .LBB21_1770
	s_branch .LBB21_1807
.LBB21_1768:
	s_or_b64 exec, exec, s[2:3]
	s_and_saveexec_b64 s[2:3], s[6:7]
	s_xor_b64 s[2:3], exec, s[2:3]
	s_cbranch_execz .LBB21_1767
.LBB21_1769:
	v_cmp_neq_f32_e32 vcc, 0, v12
	v_cndmask_b32_e64 v3, 0, 1, vcc
	s_waitcnt vmcnt(0)
	global_store_byte v[0:1], v3, off
	s_or_b64 exec, exec, s[2:3]
	s_and_saveexec_b64 s[2:3], s[0:1]
	s_cbranch_execz .LBB21_1807
.LBB21_1770:
	v_cmp_gt_i16_e32 vcc, 5, v2
	s_mov_b64 s[0:1], -1
	s_cbranch_vccnz .LBB21_1791
; %bb.1771:
	v_cmp_gt_i16_e32 vcc, 8, v2
	s_cbranch_vccnz .LBB21_1781
; %bb.1772:
	v_cmp_gt_i16_e32 vcc, 9, v2
	s_cbranch_vccnz .LBB21_1778
; %bb.1773:
	v_cmp_lt_i16_e32 vcc, 9, v2
	s_cbranch_vccz .LBB21_1775
; %bb.1774:
	v_mov_b32_e32 v6, 0
	v_cvt_f64_f32_e32 v[4:5], v12
	v_mov_b32_e32 v7, v6
	s_waitcnt vmcnt(0)
	global_store_dwordx4 v[0:1], v[4:7], off
	s_mov_b64 s[0:1], 0
.LBB21_1775:
	s_andn2_b64 vcc, exec, s[0:1]
	s_cbranch_vccnz .LBB21_1777
; %bb.1776:
	v_mov_b32_e32 v13, 0
	s_waitcnt vmcnt(0)
	global_store_dwordx2 v[0:1], v[12:13], off
.LBB21_1777:
	s_mov_b64 s[0:1], 0
.LBB21_1778:
	s_andn2_b64 vcc, exec, s[0:1]
	s_cbranch_vccnz .LBB21_1780
; %bb.1779:
	v_cvt_f16_f32_e32 v3, v12
	s_waitcnt vmcnt(0)
	global_store_dword v[0:1], v3, off
.LBB21_1780:
	s_mov_b64 s[0:1], 0
.LBB21_1781:
	s_andn2_b64 vcc, exec, s[0:1]
	s_cbranch_vccnz .LBB21_1790
; %bb.1782:
	v_cmp_gt_i16_e32 vcc, 6, v2
	s_mov_b64 s[0:1], -1
	s_cbranch_vccnz .LBB21_1788
; %bb.1783:
	v_cmp_lt_i16_e32 vcc, 6, v2
	s_cbranch_vccz .LBB21_1785
; %bb.1784:
	v_cvt_f64_f32_e32 v[4:5], v12
	s_waitcnt vmcnt(0)
	global_store_dwordx2 v[0:1], v[4:5], off
	s_mov_b64 s[0:1], 0
.LBB21_1785:
	s_andn2_b64 vcc, exec, s[0:1]
	s_cbranch_vccnz .LBB21_1787
; %bb.1786:
	s_waitcnt vmcnt(0)
	global_store_dword v[0:1], v12, off
.LBB21_1787:
	s_mov_b64 s[0:1], 0
.LBB21_1788:
	s_andn2_b64 vcc, exec, s[0:1]
	s_cbranch_vccnz .LBB21_1790
; %bb.1789:
	v_cvt_f16_f32_e32 v3, v12
	s_waitcnt vmcnt(0)
	global_store_short v[0:1], v3, off
.LBB21_1790:
	s_mov_b64 s[0:1], 0
.LBB21_1791:
	s_andn2_b64 vcc, exec, s[0:1]
	s_cbranch_vccnz .LBB21_1807
; %bb.1792:
	v_cmp_gt_i16_e32 vcc, 2, v2
	s_mov_b64 s[0:1], -1
	s_cbranch_vccnz .LBB21_1802
; %bb.1793:
	v_cmp_gt_i16_e32 vcc, 3, v2
	s_cbranch_vccnz .LBB21_1799
; %bb.1794:
	v_cmp_lt_i16_e32 vcc, 3, v2
	s_cbranch_vccz .LBB21_1796
; %bb.1795:
	v_trunc_f32_e32 v3, v12
	s_mov_b32 s0, 0x2f800000
	v_mul_f32_e64 v4, |v3|, s0
	v_floor_f32_e32 v4, v4
	s_mov_b32 s0, 0xcf800000
	v_cvt_u32_f32_e32 v5, v4
	v_fma_f32 v4, v4, s0, |v3|
	v_cvt_u32_f32_e32 v4, v4
	v_ashrrev_i32_e32 v3, 31, v3
	v_xor_b32_e32 v5, v5, v3
	s_mov_b64 s[0:1], 0
	v_xor_b32_e32 v4, v4, v3
	v_sub_co_u32_e32 v4, vcc, v4, v3
	v_subb_co_u32_e32 v5, vcc, v5, v3, vcc
	s_waitcnt vmcnt(0)
	global_store_dwordx2 v[0:1], v[4:5], off
.LBB21_1796:
	s_andn2_b64 vcc, exec, s[0:1]
	s_cbranch_vccnz .LBB21_1798
; %bb.1797:
	v_cvt_i32_f32_e32 v3, v12
	s_waitcnt vmcnt(0)
	global_store_dword v[0:1], v3, off
.LBB21_1798:
	s_mov_b64 s[0:1], 0
.LBB21_1799:
	s_andn2_b64 vcc, exec, s[0:1]
	s_cbranch_vccnz .LBB21_1801
; %bb.1800:
	v_cvt_i32_f32_e32 v3, v12
	s_waitcnt vmcnt(0)
	global_store_short v[0:1], v3, off
.LBB21_1801:
	s_mov_b64 s[0:1], 0
.LBB21_1802:
	s_andn2_b64 vcc, exec, s[0:1]
	s_cbranch_vccnz .LBB21_1807
; %bb.1803:
	v_cmp_lt_i16_e32 vcc, 0, v2
	s_mov_b64 s[0:1], -1
	s_cbranch_vccz .LBB21_1805
; %bb.1804:
	v_cvt_i32_f32_e32 v2, v12
	s_mov_b64 s[0:1], 0
	s_waitcnt vmcnt(0)
	global_store_byte v[0:1], v2, off
.LBB21_1805:
	s_andn2_b64 vcc, exec, s[0:1]
	s_cbranch_vccnz .LBB21_1807
; %bb.1806:
	v_trunc_f32_e32 v2, v12
	s_mov_b32 s0, 0x2f800000
	v_mul_f32_e64 v3, |v2|, s0
	v_floor_f32_e32 v3, v3
	s_mov_b32 s0, 0xcf800000
	v_fma_f32 v3, v3, s0, |v2|
	v_cvt_u32_f32_e32 v3, v3
	v_ashrrev_i32_e32 v2, 31, v2
	v_xor_b32_e32 v3, v3, v2
	v_sub_u32_e32 v2, v3, v2
	s_waitcnt vmcnt(0)
	global_store_byte v[0:1], v2, off
	s_endpgm
.LBB21_1807:
	s_endpgm
.LBB21_1808:
	s_mov_b64 s[0:1], -1
	s_mov_b64 s[6:7], 0
	s_branch .LBB21_1884
.LBB21_1809:
	s_mov_b64 s[0:1], 0
	s_branch .LBB21_1823
.LBB21_1810:
	s_mov_b64 s[0:1], 0
	s_branch .LBB21_1819
.LBB21_1811:
	s_trap 2
	s_or_b64 s[2:3], s[2:3], exec
                                        ; implicit-def: $vgpr1
	s_cbranch_execz .LBB21_1691
	s_branch .LBB21_1692
.LBB21_1812:
	s_mov_b64 s[0:1], 0
.LBB21_1813:
	s_and_b64 vcc, exec, s[10:11]
	s_cbranch_vccz .LBB21_1818
; %bb.1814:
	v_mov_b32_e32 v1, 44
	v_cmp_eq_u16_sdwa s[10:11], s14, v1 src0_sel:BYTE_0 src1_sel:DWORD
	s_mov_b64 s[0:1], -1
	s_and_b64 vcc, exec, s[10:11]
	s_cbranch_vccz .LBB21_1818
; %bb.1815:
	v_bfe_u32 v1, v8, 23, 8
	s_movk_i32 s0, 0xff
	v_cmp_ne_u32_e32 vcc, s0, v1
	v_mov_b32_e32 v3, 0xff
	s_and_saveexec_b64 s[6:7], vcc
; %bb.1816:
	s_mov_b32 s0, 0x3fffff
	v_and_b32_e32 v5, 0x400000, v8
	v_and_or_b32 v1, v8, s0, v1
	v_cmp_ne_u32_e32 vcc, 0, v5
	v_cmp_ne_u32_e64 s[0:1], 0, v1
	s_and_b64 s[0:1], vcc, s[0:1]
	v_lshrrev_b32_e32 v3, 23, v8
	v_cndmask_b32_e64 v1, 0, 1, s[0:1]
	v_add_u32_e32 v3, v3, v1
; %bb.1817:
	s_or_b64 exec, exec, s[6:7]
	s_mov_b64 s[0:1], 0
	s_mov_b64 s[6:7], -1
	global_store_byte v[6:7], v3, off
.LBB21_1818:
	s_mov_b64 s[10:11], 0
.LBB21_1819:
	s_and_b64 vcc, exec, s[10:11]
	s_cbranch_vccz .LBB21_1822
; %bb.1820:
	v_mov_b32_e32 v1, 29
	v_cmp_eq_u16_sdwa s[10:11], s14, v1 src0_sel:BYTE_0 src1_sel:DWORD
	s_mov_b64 s[0:1], -1
	s_and_b64 vcc, exec, s[10:11]
	s_cbranch_vccz .LBB21_1822
; %bb.1821:
	v_trunc_f32_e32 v1, v8
	v_mul_f32_e32 v3, 0x2f800000, v1
	v_floor_f32_e32 v3, v3
	v_fmac_f32_e32 v1, 0xcf800000, v3
	v_cvt_u32_f32_e32 v17, v3
	v_cvt_u32_f32_e32 v16, v1
	s_mov_b64 s[0:1], 0
	s_mov_b64 s[6:7], -1
	s_mov_b64 s[10:11], 0
	global_store_dwordx2 v[6:7], v[16:17], off
	s_branch .LBB21_1823
.LBB21_1822:
	s_mov_b64 s[10:11], 0
.LBB21_1823:
	s_and_b64 vcc, exec, s[10:11]
	s_cbranch_vccz .LBB21_1839
; %bb.1824:
	v_mov_b32_e32 v1, 27
	v_cmp_lt_i16_sdwa s[10:11], s14, v1 src0_sel:BYTE_0 src1_sel:DWORD
	s_mov_b64 s[6:7], -1
	s_and_b64 vcc, exec, s[10:11]
	s_cbranch_vccnz .LBB21_1830
; %bb.1825:
	v_cmp_gt_i16_sdwa s[10:11], s14, v1 src0_sel:BYTE_0 src1_sel:DWORD
	v_cvt_u32_f32_e32 v1, v8
	s_and_b64 vcc, exec, s[10:11]
	s_cbranch_vccz .LBB21_1827
; %bb.1826:
	s_mov_b64 s[6:7], 0
	global_store_dword v[6:7], v1, off
.LBB21_1827:
	s_andn2_b64 vcc, exec, s[6:7]
	s_cbranch_vccnz .LBB21_1829
; %bb.1828:
	global_store_short v[6:7], v1, off
.LBB21_1829:
	s_mov_b64 s[6:7], 0
.LBB21_1830:
	s_andn2_b64 vcc, exec, s[6:7]
	s_cbranch_vccnz .LBB21_1838
; %bb.1831:
	v_and_b32_e32 v1, 0x7fffffff, v8
	s_mov_b32 s6, 0x43800000
	v_cmp_gt_u32_e32 vcc, s6, v1
	v_mov_b32_e32 v3, 0x80
	s_and_saveexec_b64 s[6:7], vcc
	s_cbranch_execz .LBB21_1837
; %bb.1832:
	s_mov_b32 s10, 0x3bffffff
	v_cmp_lt_u32_e32 vcc, s10, v1
	s_mov_b64 s[10:11], 0
                                        ; implicit-def: $vgpr1
	s_and_saveexec_b64 s[12:13], vcc
	s_xor_b64 s[12:13], exec, s[12:13]
	s_cbranch_execz .LBB21_1933
; %bb.1833:
	v_bfe_u32 v1, v8, 20, 1
	s_mov_b32 s15, 0x487ffff
	v_add3_u32 v1, v8, v1, s15
	s_mov_b64 s[10:11], exec
	v_lshrrev_b32_e32 v1, 20, v1
	s_or_saveexec_b64 s[12:13], s[12:13]
                                        ; implicit-def: $sgpr15
	s_xor_b64 exec, exec, s[12:13]
	s_cbranch_execnz .LBB21_1934
.LBB21_1834:
	s_or_b64 exec, exec, s[12:13]
	v_mov_b32_e32 v3, s15
	s_and_saveexec_b64 s[12:13], s[10:11]
.LBB21_1835:
	v_lshrrev_b32_e32 v3, 24, v8
	s_movk_i32 s10, 0x80
	v_and_or_b32 v3, v3, s10, v1
.LBB21_1836:
	s_or_b64 exec, exec, s[12:13]
.LBB21_1837:
	s_or_b64 exec, exec, s[6:7]
	global_store_byte v[6:7], v3, off
.LBB21_1838:
	s_mov_b64 s[6:7], -1
.LBB21_1839:
	s_mov_b64 s[10:11], 0
.LBB21_1840:
	s_and_b64 vcc, exec, s[10:11]
	s_cbranch_vccz .LBB21_1880
; %bb.1841:
	v_mov_b32_e32 v1, 22
	v_cmp_gt_i16_sdwa s[10:11], s14, v1 src0_sel:BYTE_0 src1_sel:DWORD
	s_mov_b64 s[4:5], -1
	s_and_b64 vcc, exec, s[10:11]
	s_cbranch_vccz .LBB21_1873
; %bb.1842:
	v_mov_b32_e32 v1, 24
	v_cmp_lt_i16_sdwa s[6:7], s14, v1 src0_sel:BYTE_0 src1_sel:DWORD
	s_and_b64 vcc, exec, s[6:7]
	s_cbranch_vccnz .LBB21_1862
; %bb.1843:
	v_cmp_gt_i16_sdwa s[6:7], s14, v1 src0_sel:BYTE_0 src1_sel:DWORD
	s_and_b64 vcc, exec, s[6:7]
	s_cbranch_vccz .LBB21_1851
; %bb.1844:
	v_and_b32_e32 v1, 0x7fffffff, v8
	s_mov_b32 s4, 0x47800000
	v_cmp_gt_u32_e32 vcc, s4, v1
	v_mov_b32_e32 v3, 0x80
	s_and_saveexec_b64 s[4:5], vcc
	s_cbranch_execz .LBB21_1850
; %bb.1845:
	s_mov_b32 s6, 0x37ffffff
	v_cmp_lt_u32_e32 vcc, s6, v1
	s_mov_b64 s[6:7], 0
                                        ; implicit-def: $vgpr1
	s_and_saveexec_b64 s[10:11], vcc
	s_xor_b64 s[10:11], exec, s[10:11]
	s_cbranch_execz .LBB21_1937
; %bb.1846:
	v_bfe_u32 v1, v8, 21, 1
	s_mov_b32 s12, 0x88fffff
	v_add3_u32 v1, v8, v1, s12
	s_mov_b64 s[6:7], exec
	v_lshrrev_b32_e32 v1, 21, v1
	s_or_saveexec_b64 s[10:11], s[10:11]
                                        ; implicit-def: $sgpr12
	s_xor_b64 exec, exec, s[10:11]
	s_cbranch_execnz .LBB21_1938
.LBB21_1847:
	s_or_b64 exec, exec, s[10:11]
	v_mov_b32_e32 v3, s12
	s_and_saveexec_b64 s[10:11], s[6:7]
.LBB21_1848:
	v_lshrrev_b32_e32 v3, 24, v8
	s_movk_i32 s6, 0x80
	v_and_or_b32 v3, v3, s6, v1
.LBB21_1849:
	s_or_b64 exec, exec, s[10:11]
.LBB21_1850:
	s_or_b64 exec, exec, s[4:5]
	s_mov_b64 s[4:5], 0
	global_store_byte v[6:7], v3, off
.LBB21_1851:
	s_and_b64 vcc, exec, s[4:5]
	s_cbranch_vccz .LBB21_1861
; %bb.1852:
	v_and_b32_e32 v3, 0x7fffffff, v8
	s_mov_b32 s4, 0x43f00000
	v_cmp_gt_u32_e32 vcc, s4, v3
                                        ; implicit-def: $vgpr1
	s_and_saveexec_b64 s[4:5], vcc
	s_xor_b64 s[4:5], exec, s[4:5]
	s_cbranch_execz .LBB21_1858
; %bb.1853:
	s_mov_b32 s6, 0x3c7fffff
	v_cmp_lt_u32_e32 vcc, s6, v3
                                        ; implicit-def: $vgpr1
	s_and_saveexec_b64 s[6:7], vcc
	s_xor_b64 s[6:7], exec, s[6:7]
; %bb.1854:
	v_bfe_u32 v1, v8, 20, 1
	s_mov_b32 s10, 0x407ffff
	v_add3_u32 v1, v8, v1, s10
	v_lshrrev_b32_e32 v3, 20, v1
	v_and_b32_e32 v1, 0xff00000, v1
	s_mov_b32 s10, 0x7f00000
	v_mov_b32_e32 v5, 0x7e
	v_cmp_ne_u32_e32 vcc, s10, v1
	v_cndmask_b32_e32 v1, v5, v3, vcc
; %bb.1855:
	s_andn2_saveexec_b64 s[6:7], s[6:7]
; %bb.1856:
	s_mov_b32 s10, 0x46800000
	v_add_f32_e64 v1, |v8|, s10
; %bb.1857:
	s_or_b64 exec, exec, s[6:7]
                                        ; implicit-def: $vgpr3
.LBB21_1858:
	s_andn2_saveexec_b64 s[4:5], s[4:5]
; %bb.1859:
	s_mov_b32 s6, 0x7f800000
	v_mov_b32_e32 v1, 0x7e
	v_mov_b32_e32 v5, 0x7f
	v_cmp_lt_u32_e32 vcc, s6, v3
	v_cndmask_b32_e32 v1, v1, v5, vcc
; %bb.1860:
	s_or_b64 exec, exec, s[4:5]
	v_lshrrev_b32_e32 v3, 24, v8
	s_movk_i32 s4, 0x80
	v_and_or_b32 v1, v3, s4, v1
	global_store_byte v[6:7], v1, off
.LBB21_1861:
	s_mov_b64 s[4:5], 0
.LBB21_1862:
	s_andn2_b64 vcc, exec, s[4:5]
	s_cbranch_vccnz .LBB21_1872
; %bb.1863:
	v_and_b32_e32 v3, 0x7fffffff, v8
	s_mov_b32 s4, 0x47800000
	v_cmp_gt_u32_e32 vcc, s4, v3
                                        ; implicit-def: $vgpr1
	s_and_saveexec_b64 s[4:5], vcc
	s_xor_b64 s[4:5], exec, s[4:5]
	s_cbranch_execz .LBB21_1869
; %bb.1864:
	s_mov_b32 s6, 0x387fffff
	v_cmp_lt_u32_e32 vcc, s6, v3
                                        ; implicit-def: $vgpr1
	s_and_saveexec_b64 s[6:7], vcc
	s_xor_b64 s[6:7], exec, s[6:7]
; %bb.1865:
	v_bfe_u32 v1, v8, 21, 1
	s_mov_b32 s10, 0x80fffff
	v_add3_u32 v1, v8, v1, s10
	v_lshrrev_b32_e32 v1, 21, v1
; %bb.1866:
	s_andn2_saveexec_b64 s[6:7], s[6:7]
; %bb.1867:
	s_mov_b32 s10, 0x43000000
	v_add_f32_e64 v1, |v8|, s10
; %bb.1868:
	s_or_b64 exec, exec, s[6:7]
                                        ; implicit-def: $vgpr3
.LBB21_1869:
	s_andn2_saveexec_b64 s[4:5], s[4:5]
; %bb.1870:
	s_mov_b32 s6, 0x7f800000
	v_mov_b32_e32 v1, 0x7c
	v_mov_b32_e32 v5, 0x7f
	v_cmp_lt_u32_e32 vcc, s6, v3
	v_cndmask_b32_e32 v1, v1, v5, vcc
; %bb.1871:
	s_or_b64 exec, exec, s[4:5]
	v_lshrrev_b32_e32 v3, 24, v8
	s_movk_i32 s4, 0x80
	v_and_or_b32 v1, v3, s4, v1
	global_store_byte v[6:7], v1, off
.LBB21_1872:
	s_mov_b64 s[4:5], 0
	s_mov_b64 s[6:7], -1
.LBB21_1873:
	s_andn2_b64 vcc, exec, s[4:5]
	s_mov_b64 s[4:5], 0
	s_cbranch_vccnz .LBB21_1880
; %bb.1874:
	v_mov_b32_e32 v1, 14
	v_cmp_gt_i16_sdwa s[4:5], s14, v1 src0_sel:BYTE_0 src1_sel:DWORD
	s_mov_b64 s[10:11], -1
	s_and_b64 vcc, exec, s[4:5]
	s_cbranch_vccz .LBB21_1878
; %bb.1875:
	v_mov_b32_e32 v1, 15
	v_cmp_eq_u16_sdwa s[4:5], s14, v1 src0_sel:BYTE_0 src1_sel:DWORD
	s_mov_b64 s[0:1], -1
	s_and_b64 vcc, exec, s[4:5]
	s_cbranch_vccz .LBB21_1877
; %bb.1876:
	v_bfe_u32 v1, v8, 16, 1
	s_movk_i32 s0, 0x7fff
	v_add3_u32 v1, v8, v1, s0
	v_lshrrev_b32_e32 v1, 16, v1
	v_mov_b32_e32 v3, 0x7fc0
	v_cmp_o_f32_e32 vcc, v8, v8
	v_cndmask_b32_e32 v1, v3, v1, vcc
	global_store_short v[6:7], v1, off
	s_mov_b64 s[0:1], 0
	s_mov_b64 s[6:7], -1
.LBB21_1877:
	s_mov_b64 s[10:11], 0
.LBB21_1878:
	s_mov_b64 s[4:5], 0
	s_and_b64 vcc, exec, s[10:11]
	s_cbranch_vccz .LBB21_1880
; %bb.1879:
	v_mov_b32_e32 v1, 11
	v_cmp_ne_u16_sdwa s[0:1], s14, v1 src0_sel:BYTE_0 src1_sel:DWORD
	s_mov_b64 s[4:5], -1
.LBB21_1880:
	s_and_b64 vcc, exec, s[0:1]
	s_cbranch_vccnz .LBB21_1936
; %bb.1881:
	s_andn2_b64 vcc, exec, s[4:5]
	s_cbranch_vccnz .LBB21_1883
.LBB21_1882:
	v_cmp_neq_f32_e32 vcc, 0, v8
	v_cndmask_b32_e64 v1, 0, 1, vcc
	s_mov_b64 s[6:7], -1
	global_store_byte v[6:7], v1, off
.LBB21_1883:
	s_mov_b64 s[0:1], 0
.LBB21_1884:
	s_and_b64 vcc, exec, s[0:1]
	s_cbranch_vccz .LBB21_1923
; %bb.1885:
	v_mov_b32_e32 v1, 5
	v_cmp_lt_i16_sdwa s[4:5], s14, v1 src0_sel:BYTE_0 src1_sel:DWORD
	s_mov_b64 s[0:1], -1
	s_and_b64 vcc, exec, s[4:5]
	s_cbranch_vccnz .LBB21_1906
; %bb.1886:
	v_mov_b32_e32 v1, 8
	v_cmp_lt_i16_sdwa s[4:5], s14, v1 src0_sel:BYTE_0 src1_sel:DWORD
	s_and_b64 vcc, exec, s[4:5]
	s_cbranch_vccnz .LBB21_1896
; %bb.1887:
	v_mov_b32_e32 v1, 9
	v_cmp_lt_i16_sdwa s[4:5], s14, v1 src0_sel:BYTE_0 src1_sel:DWORD
	s_and_b64 vcc, exec, s[4:5]
	s_cbranch_vccnz .LBB21_1893
; %bb.1888:
	v_cmp_gt_i16_sdwa s[4:5], s14, v1 src0_sel:BYTE_0 src1_sel:DWORD
	s_and_b64 vcc, exec, s[4:5]
	s_cbranch_vccz .LBB21_1890
; %bb.1889:
	v_mov_b32_e32 v18, 0
	v_cvt_f64_f32_e32 v[16:17], v8
	v_mov_b32_e32 v19, v18
	global_store_dwordx4 v[6:7], v[16:19], off
	s_mov_b64 s[0:1], 0
.LBB21_1890:
	s_andn2_b64 vcc, exec, s[0:1]
	s_cbranch_vccnz .LBB21_1892
; %bb.1891:
	v_mov_b32_e32 v9, 0
	global_store_dwordx2 v[6:7], v[8:9], off
.LBB21_1892:
	s_mov_b64 s[0:1], 0
.LBB21_1893:
	s_andn2_b64 vcc, exec, s[0:1]
	s_cbranch_vccnz .LBB21_1895
; %bb.1894:
	v_cvt_f16_f32_e32 v1, v8
	global_store_dword v[6:7], v1, off
.LBB21_1895:
	s_mov_b64 s[0:1], 0
.LBB21_1896:
	s_andn2_b64 vcc, exec, s[0:1]
	s_cbranch_vccnz .LBB21_1905
; %bb.1897:
	v_mov_b32_e32 v1, 6
	v_cmp_lt_i16_sdwa s[4:5], s14, v1 src0_sel:BYTE_0 src1_sel:DWORD
	s_mov_b64 s[0:1], -1
	s_and_b64 vcc, exec, s[4:5]
	s_cbranch_vccnz .LBB21_1903
; %bb.1898:
	v_cmp_gt_i16_sdwa s[4:5], s14, v1 src0_sel:BYTE_0 src1_sel:DWORD
	s_and_b64 vcc, exec, s[4:5]
	s_cbranch_vccz .LBB21_1900
; %bb.1899:
	v_cvt_f64_f32_e32 v[16:17], v8
	global_store_dwordx2 v[6:7], v[16:17], off
	s_mov_b64 s[0:1], 0
.LBB21_1900:
	s_andn2_b64 vcc, exec, s[0:1]
	s_cbranch_vccnz .LBB21_1902
; %bb.1901:
	global_store_dword v[6:7], v8, off
.LBB21_1902:
	s_mov_b64 s[0:1], 0
.LBB21_1903:
	s_andn2_b64 vcc, exec, s[0:1]
	s_cbranch_vccnz .LBB21_1905
; %bb.1904:
	v_cvt_f16_f32_e32 v1, v8
	global_store_short v[6:7], v1, off
.LBB21_1905:
	s_mov_b64 s[0:1], 0
.LBB21_1906:
	s_andn2_b64 vcc, exec, s[0:1]
	s_cbranch_vccnz .LBB21_1922
; %bb.1907:
	v_mov_b32_e32 v1, 2
	v_cmp_lt_i16_sdwa s[4:5], s14, v1 src0_sel:BYTE_0 src1_sel:DWORD
	s_mov_b64 s[0:1], -1
	s_and_b64 vcc, exec, s[4:5]
	s_cbranch_vccnz .LBB21_1917
; %bb.1908:
	v_mov_b32_e32 v1, 3
	v_cmp_lt_i16_sdwa s[4:5], s14, v1 src0_sel:BYTE_0 src1_sel:DWORD
	s_and_b64 vcc, exec, s[4:5]
	s_cbranch_vccnz .LBB21_1914
; %bb.1909:
	v_cmp_gt_i16_sdwa s[4:5], s14, v1 src0_sel:BYTE_0 src1_sel:DWORD
	s_and_b64 vcc, exec, s[4:5]
	s_cbranch_vccz .LBB21_1911
; %bb.1910:
	v_trunc_f32_e32 v1, v8
	s_mov_b32 s0, 0x2f800000
	v_mul_f32_e64 v3, |v1|, s0
	v_floor_f32_e32 v3, v3
	s_mov_b32 s0, 0xcf800000
	v_cvt_u32_f32_e32 v5, v3
	v_fma_f32 v3, v3, s0, |v1|
	v_cvt_u32_f32_e32 v3, v3
	v_ashrrev_i32_e32 v1, 31, v1
	v_xor_b32_e32 v5, v5, v1
	s_mov_b64 s[0:1], 0
	v_xor_b32_e32 v3, v3, v1
	v_sub_co_u32_e32 v16, vcc, v3, v1
	v_subb_co_u32_e32 v17, vcc, v5, v1, vcc
	global_store_dwordx2 v[6:7], v[16:17], off
.LBB21_1911:
	s_andn2_b64 vcc, exec, s[0:1]
	s_cbranch_vccnz .LBB21_1913
; %bb.1912:
	v_cvt_i32_f32_e32 v1, v8
	global_store_dword v[6:7], v1, off
.LBB21_1913:
	s_mov_b64 s[0:1], 0
.LBB21_1914:
	s_andn2_b64 vcc, exec, s[0:1]
	s_cbranch_vccnz .LBB21_1916
; %bb.1915:
	v_cvt_i32_f32_e32 v1, v8
	global_store_short v[6:7], v1, off
.LBB21_1916:
	s_mov_b64 s[0:1], 0
.LBB21_1917:
	s_andn2_b64 vcc, exec, s[0:1]
	s_cbranch_vccnz .LBB21_1922
; %bb.1918:
	v_mov_b32_e32 v1, 0
	v_cmp_gt_i16_sdwa s[4:5], s14, v1 src0_sel:BYTE_0 src1_sel:DWORD
	s_mov_b64 s[0:1], -1
	s_and_b64 vcc, exec, s[4:5]
	s_cbranch_vccz .LBB21_1920
; %bb.1919:
	v_cvt_i32_f32_e32 v1, v8
	s_mov_b64 s[0:1], 0
	global_store_byte v[6:7], v1, off
.LBB21_1920:
	s_andn2_b64 vcc, exec, s[0:1]
	s_cbranch_vccnz .LBB21_1922
; %bb.1921:
	v_trunc_f32_e32 v1, v8
	s_mov_b32 s0, 0x2f800000
	v_mul_f32_e64 v3, |v1|, s0
	v_floor_f32_e32 v3, v3
	s_mov_b32 s0, 0xcf800000
	v_fma_f32 v3, v3, s0, |v1|
	v_cvt_u32_f32_e32 v3, v3
	v_ashrrev_i32_e32 v1, 31, v1
	v_xor_b32_e32 v3, v3, v1
	v_sub_u32_e32 v1, v3, v1
	global_store_byte v[6:7], v1, off
.LBB21_1922:
	s_mov_b64 s[6:7], -1
.LBB21_1923:
	s_andn2_b64 vcc, exec, s[6:7]
	s_cbranch_vccnz .LBB21_2254
; %bb.1924:
	v_mov_b32_e32 v1, s9
	v_add_co_u32_e32 v4, vcc, s8, v4
	v_addc_co_u32_e32 v5, vcc, 0, v1, vcc
	v_mov_b32_e32 v1, 11
	v_cmp_lt_i16_sdwa s[0:1], s14, v1 src0_sel:BYTE_0 src1_sel:DWORD
	s_and_b64 vcc, exec, s[0:1]
	s_cbranch_vccnz .LBB21_1931
; %bb.1925:
	v_mov_b32_e32 v1, 25
	v_cmp_gt_i16_sdwa s[0:1], s14, v1 src0_sel:BYTE_0 src1_sel:DWORD
	s_mov_b64 s[10:11], -1
	s_mov_b64 s[4:5], 0
	s_and_b64 vcc, exec, s[0:1]
	s_mov_b64 s[6:7], 0
	s_mov_b64 s[0:1], 0
	s_cbranch_vccz .LBB21_1967
; %bb.1926:
	v_mov_b32_e32 v1, 28
	v_cmp_gt_i16_sdwa s[0:1], s14, v1 src0_sel:BYTE_0 src1_sel:DWORD
	s_and_b64 vcc, exec, s[0:1]
	s_cbranch_vccz .LBB21_1932
; %bb.1927:
	v_mov_b32_e32 v1, 43
	v_cmp_gt_i16_sdwa s[0:1], s14, v1 src0_sel:BYTE_0 src1_sel:DWORD
	s_and_b64 vcc, exec, s[0:1]
	s_cbranch_vccz .LBB21_1935
; %bb.1928:
	v_mov_b32_e32 v1, 45
	v_cmp_gt_i16_sdwa s[0:1], s14, v1 src0_sel:BYTE_0 src1_sel:DWORD
	s_and_b64 vcc, exec, s[0:1]
	s_cbranch_vccz .LBB21_1939
; %bb.1929:
	v_mov_b32_e32 v1, 46
	v_cmp_eq_u16_sdwa s[6:7], s14, v1 src0_sel:BYTE_0 src1_sel:DWORD
	s_mov_b64 s[0:1], -1
	s_mov_b64 s[10:11], 0
	s_and_b64 vcc, exec, s[6:7]
	s_mov_b64 s[6:7], 0
	s_cbranch_vccz .LBB21_1940
; %bb.1930:
	v_bfe_u32 v1, v10, 16, 1
	s_movk_i32 s0, 0x7fff
	v_add3_u32 v1, v10, v1, s0
	v_lshrrev_b32_e32 v1, 16, v1
	v_mov_b32_e32 v3, 0x7fc0
	v_cmp_o_f32_e32 vcc, v10, v10
	v_cndmask_b32_e32 v1, v3, v1, vcc
	global_store_dword v[4:5], v1, off
	s_mov_b64 s[0:1], 0
	s_mov_b64 s[6:7], -1
	s_branch .LBB21_1940
.LBB21_1931:
	s_mov_b64 s[0:1], -1
	s_mov_b64 s[6:7], 0
	s_branch .LBB21_2011
.LBB21_1932:
	s_mov_b64 s[0:1], 0
	s_branch .LBB21_1950
.LBB21_1933:
	s_or_saveexec_b64 s[12:13], s[12:13]
                                        ; implicit-def: $sgpr15
	s_xor_b64 exec, exec, s[12:13]
	s_cbranch_execz .LBB21_1834
.LBB21_1934:
	s_mov_b32 s15, 0x46000000
	v_add_f32_e64 v1, |v8|, s15
	v_and_b32_e32 v1, 0xff, v1
	v_cmp_ne_u32_e32 vcc, 0, v1
	s_andn2_b64 s[10:11], s[10:11], exec
	s_and_b64 s[16:17], vcc, exec
	s_mov_b32 s15, 0
	s_or_b64 s[10:11], s[10:11], s[16:17]
	s_or_b64 exec, exec, s[12:13]
	v_mov_b32_e32 v3, s15
	s_and_saveexec_b64 s[12:13], s[10:11]
	s_cbranch_execnz .LBB21_1835
	s_branch .LBB21_1836
.LBB21_1935:
	s_mov_b64 s[0:1], 0
	s_branch .LBB21_1946
.LBB21_1936:
	s_trap 2
	s_or_b64 s[2:3], s[2:3], exec
	s_cbranch_execz .LBB21_1882
	s_branch .LBB21_1883
.LBB21_1937:
	s_or_saveexec_b64 s[10:11], s[10:11]
                                        ; implicit-def: $sgpr12
	s_xor_b64 exec, exec, s[10:11]
	s_cbranch_execz .LBB21_1847
.LBB21_1938:
	s_mov_b32 s12, 0x42800000
	v_add_f32_e64 v1, |v8|, s12
	v_and_b32_e32 v1, 0xff, v1
	v_cmp_ne_u32_e32 vcc, 0, v1
	s_andn2_b64 s[6:7], s[6:7], exec
	s_and_b64 s[16:17], vcc, exec
	s_mov_b32 s12, 0
	s_or_b64 s[6:7], s[6:7], s[16:17]
	s_or_b64 exec, exec, s[10:11]
	v_mov_b32_e32 v3, s12
	s_and_saveexec_b64 s[10:11], s[6:7]
	s_cbranch_execnz .LBB21_1848
	s_branch .LBB21_1849
.LBB21_1939:
	s_mov_b64 s[0:1], 0
.LBB21_1940:
	s_and_b64 vcc, exec, s[10:11]
	s_cbranch_vccz .LBB21_1945
; %bb.1941:
	v_mov_b32_e32 v1, 44
	v_cmp_eq_u16_sdwa s[10:11], s14, v1 src0_sel:BYTE_0 src1_sel:DWORD
	s_mov_b64 s[0:1], -1
	s_and_b64 vcc, exec, s[10:11]
	s_cbranch_vccz .LBB21_1945
; %bb.1942:
	v_bfe_u32 v1, v10, 23, 8
	s_movk_i32 s0, 0xff
	v_cmp_ne_u32_e32 vcc, s0, v1
	v_mov_b32_e32 v3, 0xff
	s_and_saveexec_b64 s[6:7], vcc
; %bb.1943:
	s_mov_b32 s0, 0x3fffff
	v_and_b32_e32 v6, 0x400000, v10
	v_and_or_b32 v1, v10, s0, v1
	v_cmp_ne_u32_e32 vcc, 0, v6
	v_cmp_ne_u32_e64 s[0:1], 0, v1
	s_and_b64 s[0:1], vcc, s[0:1]
	v_lshrrev_b32_e32 v3, 23, v10
	v_cndmask_b32_e64 v1, 0, 1, s[0:1]
	v_add_u32_e32 v3, v3, v1
; %bb.1944:
	s_or_b64 exec, exec, s[6:7]
	s_mov_b64 s[0:1], 0
	s_mov_b64 s[6:7], -1
	global_store_byte v[4:5], v3, off
.LBB21_1945:
	s_mov_b64 s[10:11], 0
.LBB21_1946:
	s_and_b64 vcc, exec, s[10:11]
	s_cbranch_vccz .LBB21_1949
; %bb.1947:
	v_mov_b32_e32 v1, 29
	v_cmp_eq_u16_sdwa s[10:11], s14, v1 src0_sel:BYTE_0 src1_sel:DWORD
	s_mov_b64 s[0:1], -1
	s_and_b64 vcc, exec, s[10:11]
	s_cbranch_vccz .LBB21_1949
; %bb.1948:
	v_trunc_f32_e32 v1, v10
	v_mul_f32_e32 v3, 0x2f800000, v1
	v_floor_f32_e32 v3, v3
	v_fmac_f32_e32 v1, 0xcf800000, v3
	v_cvt_u32_f32_e32 v7, v3
	v_cvt_u32_f32_e32 v6, v1
	s_mov_b64 s[0:1], 0
	s_mov_b64 s[6:7], -1
	s_mov_b64 s[10:11], 0
	global_store_dwordx2 v[4:5], v[6:7], off
	s_branch .LBB21_1950
.LBB21_1949:
	s_mov_b64 s[10:11], 0
.LBB21_1950:
	s_and_b64 vcc, exec, s[10:11]
	s_cbranch_vccz .LBB21_1966
; %bb.1951:
	v_mov_b32_e32 v1, 27
	v_cmp_lt_i16_sdwa s[10:11], s14, v1 src0_sel:BYTE_0 src1_sel:DWORD
	s_mov_b64 s[6:7], -1
	s_and_b64 vcc, exec, s[10:11]
	s_cbranch_vccnz .LBB21_1957
; %bb.1952:
	v_cmp_gt_i16_sdwa s[10:11], s14, v1 src0_sel:BYTE_0 src1_sel:DWORD
	s_and_b64 vcc, exec, s[10:11]
	s_cbranch_vccz .LBB21_1954
; %bb.1953:
	v_cvt_u32_f32_e32 v1, v10
	s_mov_b64 s[6:7], 0
	global_store_dword v[4:5], v1, off
.LBB21_1954:
	s_andn2_b64 vcc, exec, s[6:7]
	s_cbranch_vccnz .LBB21_1956
; %bb.1955:
	v_cvt_u32_f32_e32 v1, v10
	global_store_short v[4:5], v1, off
.LBB21_1956:
	s_mov_b64 s[6:7], 0
.LBB21_1957:
	s_andn2_b64 vcc, exec, s[6:7]
	s_cbranch_vccnz .LBB21_1965
; %bb.1958:
	v_and_b32_e32 v1, 0x7fffffff, v10
	s_mov_b32 s6, 0x43800000
	v_cmp_gt_u32_e32 vcc, s6, v1
	v_mov_b32_e32 v3, 0x80
	s_and_saveexec_b64 s[6:7], vcc
	s_cbranch_execz .LBB21_1964
; %bb.1959:
	s_mov_b32 s10, 0x3bffffff
	v_cmp_lt_u32_e32 vcc, s10, v1
	s_mov_b64 s[10:11], 0
                                        ; implicit-def: $vgpr1
	s_and_saveexec_b64 s[12:13], vcc
	s_xor_b64 s[12:13], exec, s[12:13]
	s_cbranch_execz .LBB21_2060
; %bb.1960:
	v_bfe_u32 v1, v10, 20, 1
	s_mov_b32 s15, 0x487ffff
	v_add3_u32 v1, v10, v1, s15
	s_mov_b64 s[10:11], exec
	v_lshrrev_b32_e32 v1, 20, v1
	s_or_saveexec_b64 s[12:13], s[12:13]
                                        ; implicit-def: $sgpr15
	s_xor_b64 exec, exec, s[12:13]
	s_cbranch_execnz .LBB21_2061
.LBB21_1961:
	s_or_b64 exec, exec, s[12:13]
	v_mov_b32_e32 v3, s15
	s_and_saveexec_b64 s[12:13], s[10:11]
.LBB21_1962:
	v_lshrrev_b32_e32 v3, 24, v10
	s_movk_i32 s10, 0x80
	v_and_or_b32 v3, v3, s10, v1
.LBB21_1963:
	s_or_b64 exec, exec, s[12:13]
.LBB21_1964:
	s_or_b64 exec, exec, s[6:7]
	global_store_byte v[4:5], v3, off
.LBB21_1965:
	s_mov_b64 s[6:7], -1
.LBB21_1966:
	s_mov_b64 s[10:11], 0
.LBB21_1967:
	s_and_b64 vcc, exec, s[10:11]
	s_cbranch_vccz .LBB21_2007
; %bb.1968:
	v_mov_b32_e32 v1, 22
	v_cmp_gt_i16_sdwa s[10:11], s14, v1 src0_sel:BYTE_0 src1_sel:DWORD
	s_mov_b64 s[4:5], -1
	s_and_b64 vcc, exec, s[10:11]
	s_cbranch_vccz .LBB21_2000
; %bb.1969:
	v_mov_b32_e32 v1, 24
	v_cmp_lt_i16_sdwa s[6:7], s14, v1 src0_sel:BYTE_0 src1_sel:DWORD
	s_and_b64 vcc, exec, s[6:7]
	s_cbranch_vccnz .LBB21_1989
; %bb.1970:
	v_cmp_gt_i16_sdwa s[6:7], s14, v1 src0_sel:BYTE_0 src1_sel:DWORD
	s_and_b64 vcc, exec, s[6:7]
	s_cbranch_vccz .LBB21_1978
; %bb.1971:
	v_and_b32_e32 v1, 0x7fffffff, v10
	s_mov_b32 s4, 0x47800000
	v_cmp_gt_u32_e32 vcc, s4, v1
	v_mov_b32_e32 v3, 0x80
	s_and_saveexec_b64 s[4:5], vcc
	s_cbranch_execz .LBB21_1977
; %bb.1972:
	s_mov_b32 s6, 0x37ffffff
	v_cmp_lt_u32_e32 vcc, s6, v1
	s_mov_b64 s[6:7], 0
                                        ; implicit-def: $vgpr1
	s_and_saveexec_b64 s[10:11], vcc
	s_xor_b64 s[10:11], exec, s[10:11]
	s_cbranch_execz .LBB21_2064
; %bb.1973:
	v_bfe_u32 v1, v10, 21, 1
	s_mov_b32 s12, 0x88fffff
	v_add3_u32 v1, v10, v1, s12
	s_mov_b64 s[6:7], exec
	v_lshrrev_b32_e32 v1, 21, v1
	s_or_saveexec_b64 s[10:11], s[10:11]
                                        ; implicit-def: $sgpr12
	s_xor_b64 exec, exec, s[10:11]
	s_cbranch_execnz .LBB21_2065
.LBB21_1974:
	s_or_b64 exec, exec, s[10:11]
	v_mov_b32_e32 v3, s12
	s_and_saveexec_b64 s[10:11], s[6:7]
.LBB21_1975:
	v_lshrrev_b32_e32 v3, 24, v10
	s_movk_i32 s6, 0x80
	v_and_or_b32 v3, v3, s6, v1
.LBB21_1976:
	s_or_b64 exec, exec, s[10:11]
.LBB21_1977:
	s_or_b64 exec, exec, s[4:5]
	s_mov_b64 s[4:5], 0
	global_store_byte v[4:5], v3, off
.LBB21_1978:
	s_and_b64 vcc, exec, s[4:5]
	s_cbranch_vccz .LBB21_1988
; %bb.1979:
	v_and_b32_e32 v3, 0x7fffffff, v10
	s_mov_b32 s4, 0x43f00000
	v_cmp_gt_u32_e32 vcc, s4, v3
                                        ; implicit-def: $vgpr1
	s_and_saveexec_b64 s[4:5], vcc
	s_xor_b64 s[4:5], exec, s[4:5]
	s_cbranch_execz .LBB21_1985
; %bb.1980:
	s_mov_b32 s6, 0x3c7fffff
	v_cmp_lt_u32_e32 vcc, s6, v3
                                        ; implicit-def: $vgpr1
	s_and_saveexec_b64 s[6:7], vcc
	s_xor_b64 s[6:7], exec, s[6:7]
; %bb.1981:
	v_bfe_u32 v1, v10, 20, 1
	s_mov_b32 s10, 0x407ffff
	v_add3_u32 v1, v10, v1, s10
	v_lshrrev_b32_e32 v3, 20, v1
	v_and_b32_e32 v1, 0xff00000, v1
	s_mov_b32 s10, 0x7f00000
	v_mov_b32_e32 v6, 0x7e
	v_cmp_ne_u32_e32 vcc, s10, v1
	v_cndmask_b32_e32 v1, v6, v3, vcc
; %bb.1982:
	s_andn2_saveexec_b64 s[6:7], s[6:7]
; %bb.1983:
	s_mov_b32 s10, 0x46800000
	v_add_f32_e64 v1, |v10|, s10
; %bb.1984:
	s_or_b64 exec, exec, s[6:7]
                                        ; implicit-def: $vgpr3
.LBB21_1985:
	s_andn2_saveexec_b64 s[4:5], s[4:5]
; %bb.1986:
	s_mov_b32 s6, 0x7f800000
	v_mov_b32_e32 v1, 0x7e
	v_mov_b32_e32 v6, 0x7f
	v_cmp_lt_u32_e32 vcc, s6, v3
	v_cndmask_b32_e32 v1, v1, v6, vcc
; %bb.1987:
	s_or_b64 exec, exec, s[4:5]
	v_lshrrev_b32_e32 v3, 24, v10
	s_movk_i32 s4, 0x80
	v_and_or_b32 v1, v3, s4, v1
	global_store_byte v[4:5], v1, off
.LBB21_1988:
	s_mov_b64 s[4:5], 0
.LBB21_1989:
	s_andn2_b64 vcc, exec, s[4:5]
	s_cbranch_vccnz .LBB21_1999
; %bb.1990:
	v_and_b32_e32 v3, 0x7fffffff, v10
	s_mov_b32 s4, 0x47800000
	v_cmp_gt_u32_e32 vcc, s4, v3
                                        ; implicit-def: $vgpr1
	s_and_saveexec_b64 s[4:5], vcc
	s_xor_b64 s[4:5], exec, s[4:5]
	s_cbranch_execz .LBB21_1996
; %bb.1991:
	s_mov_b32 s6, 0x387fffff
	v_cmp_lt_u32_e32 vcc, s6, v3
                                        ; implicit-def: $vgpr1
	s_and_saveexec_b64 s[6:7], vcc
	s_xor_b64 s[6:7], exec, s[6:7]
; %bb.1992:
	v_bfe_u32 v1, v10, 21, 1
	s_mov_b32 s10, 0x80fffff
	v_add3_u32 v1, v10, v1, s10
	v_lshrrev_b32_e32 v1, 21, v1
; %bb.1993:
	s_andn2_saveexec_b64 s[6:7], s[6:7]
; %bb.1994:
	s_mov_b32 s10, 0x43000000
	v_add_f32_e64 v1, |v10|, s10
; %bb.1995:
	s_or_b64 exec, exec, s[6:7]
                                        ; implicit-def: $vgpr3
.LBB21_1996:
	s_andn2_saveexec_b64 s[4:5], s[4:5]
; %bb.1997:
	s_mov_b32 s6, 0x7f800000
	v_mov_b32_e32 v1, 0x7c
	v_mov_b32_e32 v6, 0x7f
	v_cmp_lt_u32_e32 vcc, s6, v3
	v_cndmask_b32_e32 v1, v1, v6, vcc
; %bb.1998:
	s_or_b64 exec, exec, s[4:5]
	v_lshrrev_b32_e32 v3, 24, v10
	s_movk_i32 s4, 0x80
	v_and_or_b32 v1, v3, s4, v1
	global_store_byte v[4:5], v1, off
.LBB21_1999:
	s_mov_b64 s[4:5], 0
	s_mov_b64 s[6:7], -1
.LBB21_2000:
	s_andn2_b64 vcc, exec, s[4:5]
	s_mov_b64 s[4:5], 0
	s_cbranch_vccnz .LBB21_2007
; %bb.2001:
	v_mov_b32_e32 v1, 14
	v_cmp_gt_i16_sdwa s[4:5], s14, v1 src0_sel:BYTE_0 src1_sel:DWORD
	s_mov_b64 s[10:11], -1
	s_and_b64 vcc, exec, s[4:5]
	s_cbranch_vccz .LBB21_2005
; %bb.2002:
	v_mov_b32_e32 v1, 15
	v_cmp_eq_u16_sdwa s[4:5], s14, v1 src0_sel:BYTE_0 src1_sel:DWORD
	s_mov_b64 s[0:1], -1
	s_and_b64 vcc, exec, s[4:5]
	s_cbranch_vccz .LBB21_2004
; %bb.2003:
	v_bfe_u32 v1, v10, 16, 1
	s_movk_i32 s0, 0x7fff
	v_add3_u32 v1, v10, v1, s0
	v_lshrrev_b32_e32 v1, 16, v1
	v_mov_b32_e32 v3, 0x7fc0
	v_cmp_o_f32_e32 vcc, v10, v10
	v_cndmask_b32_e32 v1, v3, v1, vcc
	global_store_short v[4:5], v1, off
	s_mov_b64 s[0:1], 0
	s_mov_b64 s[6:7], -1
.LBB21_2004:
	s_mov_b64 s[10:11], 0
.LBB21_2005:
	s_mov_b64 s[4:5], 0
	s_and_b64 vcc, exec, s[10:11]
	s_cbranch_vccz .LBB21_2007
; %bb.2006:
	v_mov_b32_e32 v1, 11
	v_cmp_ne_u16_sdwa s[0:1], s14, v1 src0_sel:BYTE_0 src1_sel:DWORD
	s_mov_b64 s[4:5], -1
.LBB21_2007:
	s_and_b64 vcc, exec, s[0:1]
	s_cbranch_vccnz .LBB21_2063
; %bb.2008:
	s_andn2_b64 vcc, exec, s[4:5]
	s_cbranch_vccnz .LBB21_2010
.LBB21_2009:
	v_cmp_neq_f32_e32 vcc, 0, v10
	v_cndmask_b32_e64 v1, 0, 1, vcc
	s_mov_b64 s[6:7], -1
	global_store_byte v[4:5], v1, off
.LBB21_2010:
	s_mov_b64 s[0:1], 0
.LBB21_2011:
	s_and_b64 vcc, exec, s[0:1]
	s_cbranch_vccz .LBB21_2050
; %bb.2012:
	v_mov_b32_e32 v1, 5
	v_cmp_lt_i16_sdwa s[4:5], s14, v1 src0_sel:BYTE_0 src1_sel:DWORD
	s_mov_b64 s[0:1], -1
	s_and_b64 vcc, exec, s[4:5]
	s_cbranch_vccnz .LBB21_2033
; %bb.2013:
	v_mov_b32_e32 v1, 8
	v_cmp_lt_i16_sdwa s[4:5], s14, v1 src0_sel:BYTE_0 src1_sel:DWORD
	s_and_b64 vcc, exec, s[4:5]
	s_cbranch_vccnz .LBB21_2023
; %bb.2014:
	v_mov_b32_e32 v1, 9
	v_cmp_lt_i16_sdwa s[4:5], s14, v1 src0_sel:BYTE_0 src1_sel:DWORD
	s_and_b64 vcc, exec, s[4:5]
	s_cbranch_vccnz .LBB21_2020
; %bb.2015:
	v_cmp_gt_i16_sdwa s[4:5], s14, v1 src0_sel:BYTE_0 src1_sel:DWORD
	s_and_b64 vcc, exec, s[4:5]
	s_cbranch_vccz .LBB21_2017
; %bb.2016:
	v_mov_b32_e32 v8, 0
	v_cvt_f64_f32_e32 v[6:7], v10
	v_mov_b32_e32 v9, v8
	global_store_dwordx4 v[4:5], v[6:9], off
	s_mov_b64 s[0:1], 0
.LBB21_2017:
	s_andn2_b64 vcc, exec, s[0:1]
	s_cbranch_vccnz .LBB21_2019
; %bb.2018:
	v_mov_b32_e32 v11, 0
	global_store_dwordx2 v[4:5], v[10:11], off
.LBB21_2019:
	s_mov_b64 s[0:1], 0
.LBB21_2020:
	s_andn2_b64 vcc, exec, s[0:1]
	s_cbranch_vccnz .LBB21_2022
; %bb.2021:
	v_cvt_f16_f32_e32 v1, v10
	global_store_dword v[4:5], v1, off
.LBB21_2022:
	s_mov_b64 s[0:1], 0
.LBB21_2023:
	s_andn2_b64 vcc, exec, s[0:1]
	s_cbranch_vccnz .LBB21_2032
; %bb.2024:
	v_mov_b32_e32 v1, 6
	v_cmp_lt_i16_sdwa s[4:5], s14, v1 src0_sel:BYTE_0 src1_sel:DWORD
	s_mov_b64 s[0:1], -1
	s_and_b64 vcc, exec, s[4:5]
	s_cbranch_vccnz .LBB21_2030
; %bb.2025:
	v_cmp_gt_i16_sdwa s[4:5], s14, v1 src0_sel:BYTE_0 src1_sel:DWORD
	s_and_b64 vcc, exec, s[4:5]
	s_cbranch_vccz .LBB21_2027
; %bb.2026:
	v_cvt_f64_f32_e32 v[6:7], v10
	global_store_dwordx2 v[4:5], v[6:7], off
	s_mov_b64 s[0:1], 0
.LBB21_2027:
	s_andn2_b64 vcc, exec, s[0:1]
	s_cbranch_vccnz .LBB21_2029
; %bb.2028:
	global_store_dword v[4:5], v10, off
.LBB21_2029:
	s_mov_b64 s[0:1], 0
.LBB21_2030:
	s_andn2_b64 vcc, exec, s[0:1]
	s_cbranch_vccnz .LBB21_2032
; %bb.2031:
	v_cvt_f16_f32_e32 v1, v10
	global_store_short v[4:5], v1, off
.LBB21_2032:
	s_mov_b64 s[0:1], 0
.LBB21_2033:
	s_andn2_b64 vcc, exec, s[0:1]
	s_cbranch_vccnz .LBB21_2049
; %bb.2034:
	v_mov_b32_e32 v1, 2
	v_cmp_lt_i16_sdwa s[4:5], s14, v1 src0_sel:BYTE_0 src1_sel:DWORD
	s_mov_b64 s[0:1], -1
	s_and_b64 vcc, exec, s[4:5]
	s_cbranch_vccnz .LBB21_2044
; %bb.2035:
	v_mov_b32_e32 v1, 3
	v_cmp_lt_i16_sdwa s[4:5], s14, v1 src0_sel:BYTE_0 src1_sel:DWORD
	s_and_b64 vcc, exec, s[4:5]
	s_cbranch_vccnz .LBB21_2041
; %bb.2036:
	v_cmp_gt_i16_sdwa s[4:5], s14, v1 src0_sel:BYTE_0 src1_sel:DWORD
	s_and_b64 vcc, exec, s[4:5]
	s_cbranch_vccz .LBB21_2038
; %bb.2037:
	v_trunc_f32_e32 v1, v10
	s_mov_b32 s0, 0x2f800000
	v_mul_f32_e64 v3, |v1|, s0
	v_floor_f32_e32 v3, v3
	s_mov_b32 s0, 0xcf800000
	v_cvt_u32_f32_e32 v6, v3
	v_fma_f32 v3, v3, s0, |v1|
	v_cvt_u32_f32_e32 v3, v3
	v_ashrrev_i32_e32 v1, 31, v1
	v_xor_b32_e32 v7, v6, v1
	s_mov_b64 s[0:1], 0
	v_xor_b32_e32 v3, v3, v1
	v_sub_co_u32_e32 v6, vcc, v3, v1
	v_subb_co_u32_e32 v7, vcc, v7, v1, vcc
	global_store_dwordx2 v[4:5], v[6:7], off
.LBB21_2038:
	s_andn2_b64 vcc, exec, s[0:1]
	s_cbranch_vccnz .LBB21_2040
; %bb.2039:
	v_cvt_i32_f32_e32 v1, v10
	global_store_dword v[4:5], v1, off
.LBB21_2040:
	s_mov_b64 s[0:1], 0
.LBB21_2041:
	s_andn2_b64 vcc, exec, s[0:1]
	s_cbranch_vccnz .LBB21_2043
; %bb.2042:
	v_cvt_i32_f32_e32 v1, v10
	global_store_short v[4:5], v1, off
.LBB21_2043:
	s_mov_b64 s[0:1], 0
.LBB21_2044:
	s_andn2_b64 vcc, exec, s[0:1]
	s_cbranch_vccnz .LBB21_2049
; %bb.2045:
	v_mov_b32_e32 v1, 0
	v_cmp_gt_i16_sdwa s[4:5], s14, v1 src0_sel:BYTE_0 src1_sel:DWORD
	s_mov_b64 s[0:1], -1
	s_and_b64 vcc, exec, s[4:5]
	s_cbranch_vccz .LBB21_2047
; %bb.2046:
	v_cvt_i32_f32_e32 v1, v10
	s_mov_b64 s[0:1], 0
	global_store_byte v[4:5], v1, off
.LBB21_2047:
	s_andn2_b64 vcc, exec, s[0:1]
	s_cbranch_vccnz .LBB21_2049
; %bb.2048:
	v_trunc_f32_e32 v1, v10
	s_mov_b32 s0, 0x2f800000
	v_mul_f32_e64 v3, |v1|, s0
	v_floor_f32_e32 v3, v3
	s_mov_b32 s0, 0xcf800000
	v_fma_f32 v3, v3, s0, |v1|
	v_cvt_u32_f32_e32 v3, v3
	v_ashrrev_i32_e32 v1, 31, v1
	v_xor_b32_e32 v3, v3, v1
	v_sub_u32_e32 v1, v3, v1
	global_store_byte v[4:5], v1, off
.LBB21_2049:
	s_mov_b64 s[6:7], -1
.LBB21_2050:
	s_andn2_b64 vcc, exec, s[6:7]
	s_cbranch_vccnz .LBB21_2254
; %bb.2051:
	v_mov_b32_e32 v1, s9
	v_add_co_u32_e32 v2, vcc, s8, v2
	v_addc_co_u32_e32 v3, vcc, 0, v1, vcc
	v_mov_b32_e32 v1, 11
	v_cmp_lt_i16_sdwa s[0:1], s14, v1 src0_sel:BYTE_0 src1_sel:DWORD
	s_and_b64 vcc, exec, s[0:1]
	s_cbranch_vccnz .LBB21_2058
; %bb.2052:
	v_mov_b32_e32 v1, 25
	v_cmp_gt_i16_sdwa s[0:1], s14, v1 src0_sel:BYTE_0 src1_sel:DWORD
	s_mov_b64 s[10:11], -1
	s_mov_b64 s[4:5], 0
	s_and_b64 vcc, exec, s[0:1]
	s_mov_b64 s[6:7], 0
	s_mov_b64 s[0:1], 0
	s_cbranch_vccz .LBB21_2094
; %bb.2053:
	v_mov_b32_e32 v1, 28
	v_cmp_gt_i16_sdwa s[0:1], s14, v1 src0_sel:BYTE_0 src1_sel:DWORD
	s_and_b64 vcc, exec, s[0:1]
	s_cbranch_vccz .LBB21_2059
; %bb.2054:
	v_mov_b32_e32 v1, 43
	v_cmp_gt_i16_sdwa s[0:1], s14, v1 src0_sel:BYTE_0 src1_sel:DWORD
	s_and_b64 vcc, exec, s[0:1]
	;; [unrolled: 5-line block ×3, first 2 shown]
	s_cbranch_vccz .LBB21_2066
; %bb.2056:
	v_mov_b32_e32 v1, 46
	v_cmp_eq_u16_sdwa s[6:7], s14, v1 src0_sel:BYTE_0 src1_sel:DWORD
	s_mov_b64 s[0:1], -1
	s_mov_b64 s[10:11], 0
	s_and_b64 vcc, exec, s[6:7]
	s_mov_b64 s[6:7], 0
	s_cbranch_vccz .LBB21_2067
; %bb.2057:
	v_bfe_u32 v1, v14, 16, 1
	s_movk_i32 s0, 0x7fff
	v_add3_u32 v1, v14, v1, s0
	v_lshrrev_b32_e32 v1, 16, v1
	v_mov_b32_e32 v4, 0x7fc0
	v_cmp_o_f32_e32 vcc, v14, v14
	v_cndmask_b32_e32 v1, v4, v1, vcc
	global_store_dword v[2:3], v1, off
	s_mov_b64 s[0:1], 0
	s_mov_b64 s[6:7], -1
	s_branch .LBB21_2067
.LBB21_2058:
	s_mov_b64 s[0:1], -1
	s_mov_b64 s[6:7], 0
	s_branch .LBB21_2138
.LBB21_2059:
	s_mov_b64 s[0:1], 0
	s_branch .LBB21_2077
.LBB21_2060:
	s_or_saveexec_b64 s[12:13], s[12:13]
                                        ; implicit-def: $sgpr15
	s_xor_b64 exec, exec, s[12:13]
	s_cbranch_execz .LBB21_1961
.LBB21_2061:
	s_mov_b32 s15, 0x46000000
	v_add_f32_e64 v1, |v10|, s15
	v_and_b32_e32 v1, 0xff, v1
	v_cmp_ne_u32_e32 vcc, 0, v1
	s_andn2_b64 s[10:11], s[10:11], exec
	s_and_b64 s[16:17], vcc, exec
	s_mov_b32 s15, 0
	s_or_b64 s[10:11], s[10:11], s[16:17]
	s_or_b64 exec, exec, s[12:13]
	v_mov_b32_e32 v3, s15
	s_and_saveexec_b64 s[12:13], s[10:11]
	s_cbranch_execnz .LBB21_1962
	s_branch .LBB21_1963
.LBB21_2062:
	s_mov_b64 s[0:1], 0
	s_branch .LBB21_2073
.LBB21_2063:
	s_trap 2
	s_or_b64 s[2:3], s[2:3], exec
	s_cbranch_execz .LBB21_2009
	s_branch .LBB21_2010
.LBB21_2064:
	s_or_saveexec_b64 s[10:11], s[10:11]
                                        ; implicit-def: $sgpr12
	s_xor_b64 exec, exec, s[10:11]
	s_cbranch_execz .LBB21_1974
.LBB21_2065:
	s_mov_b32 s12, 0x42800000
	v_add_f32_e64 v1, |v10|, s12
	v_and_b32_e32 v1, 0xff, v1
	v_cmp_ne_u32_e32 vcc, 0, v1
	s_andn2_b64 s[6:7], s[6:7], exec
	s_and_b64 s[16:17], vcc, exec
	s_mov_b32 s12, 0
	s_or_b64 s[6:7], s[6:7], s[16:17]
	s_or_b64 exec, exec, s[10:11]
	v_mov_b32_e32 v3, s12
	s_and_saveexec_b64 s[10:11], s[6:7]
	s_cbranch_execnz .LBB21_1975
	s_branch .LBB21_1976
.LBB21_2066:
	s_mov_b64 s[0:1], 0
.LBB21_2067:
	s_and_b64 vcc, exec, s[10:11]
	s_cbranch_vccz .LBB21_2072
; %bb.2068:
	v_mov_b32_e32 v1, 44
	v_cmp_eq_u16_sdwa s[10:11], s14, v1 src0_sel:BYTE_0 src1_sel:DWORD
	s_mov_b64 s[0:1], -1
	s_and_b64 vcc, exec, s[10:11]
	s_cbranch_vccz .LBB21_2072
; %bb.2069:
	v_bfe_u32 v1, v14, 23, 8
	s_movk_i32 s0, 0xff
	v_cmp_ne_u32_e32 vcc, s0, v1
	v_mov_b32_e32 v4, 0xff
	s_and_saveexec_b64 s[6:7], vcc
; %bb.2070:
	s_mov_b32 s0, 0x3fffff
	v_and_b32_e32 v5, 0x400000, v14
	v_and_or_b32 v1, v14, s0, v1
	v_cmp_ne_u32_e32 vcc, 0, v5
	v_cmp_ne_u32_e64 s[0:1], 0, v1
	s_and_b64 s[0:1], vcc, s[0:1]
	v_lshrrev_b32_e32 v4, 23, v14
	v_cndmask_b32_e64 v1, 0, 1, s[0:1]
	v_add_u32_e32 v4, v4, v1
; %bb.2071:
	s_or_b64 exec, exec, s[6:7]
	s_mov_b64 s[0:1], 0
	s_mov_b64 s[6:7], -1
	global_store_byte v[2:3], v4, off
.LBB21_2072:
	s_mov_b64 s[10:11], 0
.LBB21_2073:
	s_and_b64 vcc, exec, s[10:11]
	s_cbranch_vccz .LBB21_2076
; %bb.2074:
	v_mov_b32_e32 v1, 29
	v_cmp_eq_u16_sdwa s[10:11], s14, v1 src0_sel:BYTE_0 src1_sel:DWORD
	s_mov_b64 s[0:1], -1
	s_and_b64 vcc, exec, s[10:11]
	s_cbranch_vccz .LBB21_2076
; %bb.2075:
	v_trunc_f32_e32 v1, v14
	v_mul_f32_e32 v4, 0x2f800000, v1
	v_floor_f32_e32 v4, v4
	v_fmac_f32_e32 v1, 0xcf800000, v4
	v_cvt_u32_f32_e32 v5, v4
	v_cvt_u32_f32_e32 v4, v1
	s_mov_b64 s[0:1], 0
	s_mov_b64 s[6:7], -1
	s_mov_b64 s[10:11], 0
	global_store_dwordx2 v[2:3], v[4:5], off
	s_branch .LBB21_2077
.LBB21_2076:
	s_mov_b64 s[10:11], 0
.LBB21_2077:
	s_and_b64 vcc, exec, s[10:11]
	s_cbranch_vccz .LBB21_2093
; %bb.2078:
	v_mov_b32_e32 v1, 27
	v_cmp_lt_i16_sdwa s[10:11], s14, v1 src0_sel:BYTE_0 src1_sel:DWORD
	s_mov_b64 s[6:7], -1
	s_and_b64 vcc, exec, s[10:11]
	s_cbranch_vccnz .LBB21_2084
; %bb.2079:
	v_cmp_gt_i16_sdwa s[10:11], s14, v1 src0_sel:BYTE_0 src1_sel:DWORD
	v_cvt_u32_f32_e32 v1, v14
	s_and_b64 vcc, exec, s[10:11]
	s_cbranch_vccz .LBB21_2081
; %bb.2080:
	s_mov_b64 s[6:7], 0
	global_store_dword v[2:3], v1, off
.LBB21_2081:
	s_andn2_b64 vcc, exec, s[6:7]
	s_cbranch_vccnz .LBB21_2083
; %bb.2082:
	global_store_short v[2:3], v1, off
.LBB21_2083:
	s_mov_b64 s[6:7], 0
.LBB21_2084:
	s_andn2_b64 vcc, exec, s[6:7]
	s_cbranch_vccnz .LBB21_2092
; %bb.2085:
	v_and_b32_e32 v1, 0x7fffffff, v14
	s_mov_b32 s6, 0x43800000
	v_cmp_gt_u32_e32 vcc, s6, v1
	v_mov_b32_e32 v4, 0x80
	s_and_saveexec_b64 s[6:7], vcc
	s_cbranch_execz .LBB21_2091
; %bb.2086:
	s_mov_b32 s10, 0x3bffffff
	v_cmp_lt_u32_e32 vcc, s10, v1
	s_mov_b64 s[10:11], 0
                                        ; implicit-def: $vgpr1
	s_and_saveexec_b64 s[12:13], vcc
	s_xor_b64 s[12:13], exec, s[12:13]
	s_cbranch_execz .LBB21_2256
; %bb.2087:
	v_bfe_u32 v1, v14, 20, 1
	s_mov_b32 s15, 0x487ffff
	v_add3_u32 v1, v14, v1, s15
	s_mov_b64 s[10:11], exec
	v_lshrrev_b32_e32 v1, 20, v1
	s_or_saveexec_b64 s[12:13], s[12:13]
                                        ; implicit-def: $sgpr15
	s_xor_b64 exec, exec, s[12:13]
	s_cbranch_execnz .LBB21_2257
.LBB21_2088:
	s_or_b64 exec, exec, s[12:13]
	v_mov_b32_e32 v4, s15
	s_and_saveexec_b64 s[12:13], s[10:11]
.LBB21_2089:
	v_lshrrev_b32_e32 v4, 24, v14
	s_movk_i32 s10, 0x80
	v_and_or_b32 v4, v4, s10, v1
.LBB21_2090:
	s_or_b64 exec, exec, s[12:13]
.LBB21_2091:
	s_or_b64 exec, exec, s[6:7]
	global_store_byte v[2:3], v4, off
.LBB21_2092:
	s_mov_b64 s[6:7], -1
.LBB21_2093:
	s_mov_b64 s[10:11], 0
.LBB21_2094:
	s_and_b64 vcc, exec, s[10:11]
	s_cbranch_vccz .LBB21_2134
; %bb.2095:
	v_mov_b32_e32 v1, 22
	v_cmp_gt_i16_sdwa s[10:11], s14, v1 src0_sel:BYTE_0 src1_sel:DWORD
	s_mov_b64 s[4:5], -1
	s_and_b64 vcc, exec, s[10:11]
	s_cbranch_vccz .LBB21_2127
; %bb.2096:
	v_mov_b32_e32 v1, 24
	v_cmp_lt_i16_sdwa s[6:7], s14, v1 src0_sel:BYTE_0 src1_sel:DWORD
	s_and_b64 vcc, exec, s[6:7]
	s_cbranch_vccnz .LBB21_2116
; %bb.2097:
	v_cmp_gt_i16_sdwa s[6:7], s14, v1 src0_sel:BYTE_0 src1_sel:DWORD
	s_and_b64 vcc, exec, s[6:7]
	s_cbranch_vccz .LBB21_2105
; %bb.2098:
	v_and_b32_e32 v1, 0x7fffffff, v14
	s_mov_b32 s4, 0x47800000
	v_cmp_gt_u32_e32 vcc, s4, v1
	v_mov_b32_e32 v4, 0x80
	s_and_saveexec_b64 s[4:5], vcc
	s_cbranch_execz .LBB21_2104
; %bb.2099:
	s_mov_b32 s6, 0x37ffffff
	v_cmp_lt_u32_e32 vcc, s6, v1
	s_mov_b64 s[6:7], 0
                                        ; implicit-def: $vgpr1
	s_and_saveexec_b64 s[10:11], vcc
	s_xor_b64 s[10:11], exec, s[10:11]
	s_cbranch_execz .LBB21_2259
; %bb.2100:
	v_bfe_u32 v1, v14, 21, 1
	s_mov_b32 s12, 0x88fffff
	v_add3_u32 v1, v14, v1, s12
	s_mov_b64 s[6:7], exec
	v_lshrrev_b32_e32 v1, 21, v1
	s_or_saveexec_b64 s[10:11], s[10:11]
                                        ; implicit-def: $sgpr12
	s_xor_b64 exec, exec, s[10:11]
	s_cbranch_execnz .LBB21_2260
.LBB21_2101:
	s_or_b64 exec, exec, s[10:11]
	v_mov_b32_e32 v4, s12
	s_and_saveexec_b64 s[10:11], s[6:7]
.LBB21_2102:
	v_lshrrev_b32_e32 v4, 24, v14
	s_movk_i32 s6, 0x80
	v_and_or_b32 v4, v4, s6, v1
.LBB21_2103:
	s_or_b64 exec, exec, s[10:11]
.LBB21_2104:
	s_or_b64 exec, exec, s[4:5]
	s_mov_b64 s[4:5], 0
	global_store_byte v[2:3], v4, off
.LBB21_2105:
	s_and_b64 vcc, exec, s[4:5]
	s_cbranch_vccz .LBB21_2115
; %bb.2106:
	v_and_b32_e32 v4, 0x7fffffff, v14
	s_mov_b32 s4, 0x43f00000
	v_cmp_gt_u32_e32 vcc, s4, v4
                                        ; implicit-def: $vgpr1
	s_and_saveexec_b64 s[4:5], vcc
	s_xor_b64 s[4:5], exec, s[4:5]
	s_cbranch_execz .LBB21_2112
; %bb.2107:
	s_mov_b32 s6, 0x3c7fffff
	v_cmp_lt_u32_e32 vcc, s6, v4
                                        ; implicit-def: $vgpr1
	s_and_saveexec_b64 s[6:7], vcc
	s_xor_b64 s[6:7], exec, s[6:7]
; %bb.2108:
	v_bfe_u32 v1, v14, 20, 1
	s_mov_b32 s10, 0x407ffff
	v_add3_u32 v1, v14, v1, s10
	v_lshrrev_b32_e32 v4, 20, v1
	v_and_b32_e32 v1, 0xff00000, v1
	s_mov_b32 s10, 0x7f00000
	v_mov_b32_e32 v5, 0x7e
	v_cmp_ne_u32_e32 vcc, s10, v1
	v_cndmask_b32_e32 v1, v5, v4, vcc
; %bb.2109:
	s_andn2_saveexec_b64 s[6:7], s[6:7]
; %bb.2110:
	s_mov_b32 s10, 0x46800000
	v_add_f32_e64 v1, |v14|, s10
; %bb.2111:
	s_or_b64 exec, exec, s[6:7]
                                        ; implicit-def: $vgpr4
.LBB21_2112:
	s_andn2_saveexec_b64 s[4:5], s[4:5]
; %bb.2113:
	s_mov_b32 s6, 0x7f800000
	v_mov_b32_e32 v1, 0x7e
	v_mov_b32_e32 v5, 0x7f
	v_cmp_lt_u32_e32 vcc, s6, v4
	v_cndmask_b32_e32 v1, v1, v5, vcc
; %bb.2114:
	s_or_b64 exec, exec, s[4:5]
	v_lshrrev_b32_e32 v4, 24, v14
	s_movk_i32 s4, 0x80
	v_and_or_b32 v1, v4, s4, v1
	global_store_byte v[2:3], v1, off
.LBB21_2115:
	s_mov_b64 s[4:5], 0
.LBB21_2116:
	s_andn2_b64 vcc, exec, s[4:5]
	s_cbranch_vccnz .LBB21_2126
; %bb.2117:
	v_and_b32_e32 v4, 0x7fffffff, v14
	s_mov_b32 s4, 0x47800000
	v_cmp_gt_u32_e32 vcc, s4, v4
                                        ; implicit-def: $vgpr1
	s_and_saveexec_b64 s[4:5], vcc
	s_xor_b64 s[4:5], exec, s[4:5]
	s_cbranch_execz .LBB21_2123
; %bb.2118:
	s_mov_b32 s6, 0x387fffff
	v_cmp_lt_u32_e32 vcc, s6, v4
                                        ; implicit-def: $vgpr1
	s_and_saveexec_b64 s[6:7], vcc
	s_xor_b64 s[6:7], exec, s[6:7]
; %bb.2119:
	v_bfe_u32 v1, v14, 21, 1
	s_mov_b32 s10, 0x80fffff
	v_add3_u32 v1, v14, v1, s10
	v_lshrrev_b32_e32 v1, 21, v1
; %bb.2120:
	s_andn2_saveexec_b64 s[6:7], s[6:7]
; %bb.2121:
	s_mov_b32 s10, 0x43000000
	v_add_f32_e64 v1, |v14|, s10
; %bb.2122:
	s_or_b64 exec, exec, s[6:7]
                                        ; implicit-def: $vgpr4
.LBB21_2123:
	s_andn2_saveexec_b64 s[4:5], s[4:5]
; %bb.2124:
	s_mov_b32 s6, 0x7f800000
	v_mov_b32_e32 v1, 0x7c
	v_mov_b32_e32 v5, 0x7f
	v_cmp_lt_u32_e32 vcc, s6, v4
	v_cndmask_b32_e32 v1, v1, v5, vcc
; %bb.2125:
	s_or_b64 exec, exec, s[4:5]
	v_lshrrev_b32_e32 v4, 24, v14
	s_movk_i32 s4, 0x80
	v_and_or_b32 v1, v4, s4, v1
	global_store_byte v[2:3], v1, off
.LBB21_2126:
	s_mov_b64 s[4:5], 0
	s_mov_b64 s[6:7], -1
.LBB21_2127:
	s_andn2_b64 vcc, exec, s[4:5]
	s_mov_b64 s[4:5], 0
	s_cbranch_vccnz .LBB21_2134
; %bb.2128:
	v_mov_b32_e32 v1, 14
	v_cmp_gt_i16_sdwa s[4:5], s14, v1 src0_sel:BYTE_0 src1_sel:DWORD
	s_mov_b64 s[10:11], -1
	s_and_b64 vcc, exec, s[4:5]
	s_cbranch_vccz .LBB21_2132
; %bb.2129:
	v_mov_b32_e32 v1, 15
	v_cmp_eq_u16_sdwa s[4:5], s14, v1 src0_sel:BYTE_0 src1_sel:DWORD
	s_mov_b64 s[0:1], -1
	s_and_b64 vcc, exec, s[4:5]
	s_cbranch_vccz .LBB21_2131
; %bb.2130:
	v_bfe_u32 v1, v14, 16, 1
	s_movk_i32 s0, 0x7fff
	v_add3_u32 v1, v14, v1, s0
	v_lshrrev_b32_e32 v1, 16, v1
	v_mov_b32_e32 v4, 0x7fc0
	v_cmp_o_f32_e32 vcc, v14, v14
	v_cndmask_b32_e32 v1, v4, v1, vcc
	global_store_short v[2:3], v1, off
	s_mov_b64 s[0:1], 0
	s_mov_b64 s[6:7], -1
.LBB21_2131:
	s_mov_b64 s[10:11], 0
.LBB21_2132:
	s_mov_b64 s[4:5], 0
	s_and_b64 vcc, exec, s[10:11]
	s_cbranch_vccz .LBB21_2134
; %bb.2133:
	v_mov_b32_e32 v1, 11
	v_cmp_ne_u16_sdwa s[0:1], s14, v1 src0_sel:BYTE_0 src1_sel:DWORD
	s_mov_b64 s[4:5], -1
.LBB21_2134:
	s_and_b64 vcc, exec, s[0:1]
	s_cbranch_vccnz .LBB21_2258
; %bb.2135:
	s_andn2_b64 vcc, exec, s[4:5]
	s_cbranch_vccnz .LBB21_2137
.LBB21_2136:
	v_cmp_neq_f32_e32 vcc, 0, v14
	v_cndmask_b32_e64 v1, 0, 1, vcc
	s_mov_b64 s[6:7], -1
	global_store_byte v[2:3], v1, off
.LBB21_2137:
	s_mov_b64 s[0:1], 0
.LBB21_2138:
	s_and_b64 vcc, exec, s[0:1]
	s_cbranch_vccz .LBB21_2177
; %bb.2139:
	v_mov_b32_e32 v1, 5
	v_cmp_lt_i16_sdwa s[4:5], s14, v1 src0_sel:BYTE_0 src1_sel:DWORD
	s_mov_b64 s[0:1], -1
	s_and_b64 vcc, exec, s[4:5]
	s_cbranch_vccnz .LBB21_2160
; %bb.2140:
	v_mov_b32_e32 v1, 8
	v_cmp_lt_i16_sdwa s[4:5], s14, v1 src0_sel:BYTE_0 src1_sel:DWORD
	s_and_b64 vcc, exec, s[4:5]
	s_cbranch_vccnz .LBB21_2150
; %bb.2141:
	v_mov_b32_e32 v1, 9
	v_cmp_lt_i16_sdwa s[4:5], s14, v1 src0_sel:BYTE_0 src1_sel:DWORD
	s_and_b64 vcc, exec, s[4:5]
	s_cbranch_vccnz .LBB21_2147
; %bb.2142:
	v_cmp_gt_i16_sdwa s[4:5], s14, v1 src0_sel:BYTE_0 src1_sel:DWORD
	s_and_b64 vcc, exec, s[4:5]
	s_cbranch_vccz .LBB21_2144
; %bb.2143:
	v_mov_b32_e32 v6, 0
	v_cvt_f64_f32_e32 v[4:5], v14
	v_mov_b32_e32 v7, v6
	global_store_dwordx4 v[2:3], v[4:7], off
	s_mov_b64 s[0:1], 0
.LBB21_2144:
	s_andn2_b64 vcc, exec, s[0:1]
	s_cbranch_vccnz .LBB21_2146
; %bb.2145:
	v_mov_b32_e32 v15, 0
	global_store_dwordx2 v[2:3], v[14:15], off
.LBB21_2146:
	s_mov_b64 s[0:1], 0
.LBB21_2147:
	s_andn2_b64 vcc, exec, s[0:1]
	s_cbranch_vccnz .LBB21_2149
; %bb.2148:
	v_cvt_f16_f32_e32 v1, v14
	global_store_dword v[2:3], v1, off
.LBB21_2149:
	s_mov_b64 s[0:1], 0
.LBB21_2150:
	s_andn2_b64 vcc, exec, s[0:1]
	s_cbranch_vccnz .LBB21_2159
; %bb.2151:
	v_mov_b32_e32 v1, 6
	v_cmp_lt_i16_sdwa s[4:5], s14, v1 src0_sel:BYTE_0 src1_sel:DWORD
	s_mov_b64 s[0:1], -1
	s_and_b64 vcc, exec, s[4:5]
	s_cbranch_vccnz .LBB21_2157
; %bb.2152:
	v_cmp_gt_i16_sdwa s[4:5], s14, v1 src0_sel:BYTE_0 src1_sel:DWORD
	s_and_b64 vcc, exec, s[4:5]
	s_cbranch_vccz .LBB21_2154
; %bb.2153:
	v_cvt_f64_f32_e32 v[4:5], v14
	global_store_dwordx2 v[2:3], v[4:5], off
	s_mov_b64 s[0:1], 0
.LBB21_2154:
	s_andn2_b64 vcc, exec, s[0:1]
	s_cbranch_vccnz .LBB21_2156
; %bb.2155:
	global_store_dword v[2:3], v14, off
.LBB21_2156:
	s_mov_b64 s[0:1], 0
.LBB21_2157:
	s_andn2_b64 vcc, exec, s[0:1]
	s_cbranch_vccnz .LBB21_2159
; %bb.2158:
	v_cvt_f16_f32_e32 v1, v14
	global_store_short v[2:3], v1, off
.LBB21_2159:
	s_mov_b64 s[0:1], 0
.LBB21_2160:
	s_andn2_b64 vcc, exec, s[0:1]
	s_cbranch_vccnz .LBB21_2176
; %bb.2161:
	v_mov_b32_e32 v1, 2
	v_cmp_lt_i16_sdwa s[4:5], s14, v1 src0_sel:BYTE_0 src1_sel:DWORD
	s_mov_b64 s[0:1], -1
	s_and_b64 vcc, exec, s[4:5]
	s_cbranch_vccnz .LBB21_2171
; %bb.2162:
	v_mov_b32_e32 v1, 3
	v_cmp_lt_i16_sdwa s[4:5], s14, v1 src0_sel:BYTE_0 src1_sel:DWORD
	s_and_b64 vcc, exec, s[4:5]
	s_cbranch_vccnz .LBB21_2168
; %bb.2163:
	v_cmp_gt_i16_sdwa s[4:5], s14, v1 src0_sel:BYTE_0 src1_sel:DWORD
	s_and_b64 vcc, exec, s[4:5]
	s_cbranch_vccz .LBB21_2165
; %bb.2164:
	v_trunc_f32_e32 v1, v14
	s_mov_b32 s0, 0x2f800000
	v_mul_f32_e64 v4, |v1|, s0
	v_floor_f32_e32 v4, v4
	s_mov_b32 s0, 0xcf800000
	v_cvt_u32_f32_e32 v5, v4
	v_fma_f32 v4, v4, s0, |v1|
	v_cvt_u32_f32_e32 v4, v4
	v_ashrrev_i32_e32 v1, 31, v1
	v_xor_b32_e32 v5, v5, v1
	s_mov_b64 s[0:1], 0
	v_xor_b32_e32 v4, v4, v1
	v_sub_co_u32_e32 v4, vcc, v4, v1
	v_subb_co_u32_e32 v5, vcc, v5, v1, vcc
	global_store_dwordx2 v[2:3], v[4:5], off
.LBB21_2165:
	s_andn2_b64 vcc, exec, s[0:1]
	s_cbranch_vccnz .LBB21_2167
; %bb.2166:
	v_cvt_i32_f32_e32 v1, v14
	global_store_dword v[2:3], v1, off
.LBB21_2167:
	s_mov_b64 s[0:1], 0
.LBB21_2168:
	s_andn2_b64 vcc, exec, s[0:1]
	s_cbranch_vccnz .LBB21_2170
; %bb.2169:
	v_cvt_i32_f32_e32 v1, v14
	global_store_short v[2:3], v1, off
.LBB21_2170:
	s_mov_b64 s[0:1], 0
.LBB21_2171:
	s_andn2_b64 vcc, exec, s[0:1]
	s_cbranch_vccnz .LBB21_2176
; %bb.2172:
	v_mov_b32_e32 v1, 0
	v_cmp_gt_i16_sdwa s[4:5], s14, v1 src0_sel:BYTE_0 src1_sel:DWORD
	s_mov_b64 s[0:1], -1
	s_and_b64 vcc, exec, s[4:5]
	s_cbranch_vccz .LBB21_2174
; %bb.2173:
	v_cvt_i32_f32_e32 v1, v14
	s_mov_b64 s[0:1], 0
	global_store_byte v[2:3], v1, off
.LBB21_2174:
	s_andn2_b64 vcc, exec, s[0:1]
	s_cbranch_vccnz .LBB21_2176
; %bb.2175:
	v_trunc_f32_e32 v1, v14
	s_mov_b32 s0, 0x2f800000
	v_mul_f32_e64 v4, |v1|, s0
	v_floor_f32_e32 v4, v4
	s_mov_b32 s0, 0xcf800000
	v_fma_f32 v4, v4, s0, |v1|
	v_cvt_u32_f32_e32 v4, v4
	v_ashrrev_i32_e32 v1, 31, v1
	v_xor_b32_e32 v4, v4, v1
	v_sub_u32_e32 v1, v4, v1
	global_store_byte v[2:3], v1, off
.LBB21_2176:
	s_mov_b64 s[6:7], -1
.LBB21_2177:
	s_andn2_b64 vcc, exec, s[6:7]
	s_cbranch_vccnz .LBB21_2254
; %bb.2178:
	v_mov_b32_e32 v1, 0xff
	v_and_b32_e32 v2, s14, v1
	v_mov_b32_e32 v1, s9
	v_add_co_u32_e32 v0, vcc, s8, v0
	v_addc_co_u32_e32 v1, vcc, 0, v1, vcc
	v_cmp_gt_i16_e32 vcc, 11, v2
	s_cbranch_vccnz .LBB21_2255
; %bb.2179:
	v_cmp_lt_i16_e32 vcc, 25, v2
	s_mov_b64 s[6:7], -1
	s_mov_b64 s[4:5], 0
	s_mov_b64 s[0:1], 0
	s_cbranch_vccz .LBB21_2212
; %bb.2180:
	v_cmp_lt_i16_e32 vcc, 28, v2
	s_cbranch_vccz .LBB21_2196
; %bb.2181:
	v_cmp_lt_i16_e32 vcc, 43, v2
	;; [unrolled: 3-line block ×3, first 2 shown]
	s_cbranch_vccz .LBB21_2186
; %bb.2183:
	v_cmp_eq_u16_e32 vcc, 46, v2
	s_mov_b64 s[0:1], -1
	s_cbranch_vccz .LBB21_2185
; %bb.2184:
	v_bfe_u32 v3, v12, 16, 1
	s_movk_i32 s0, 0x7fff
	v_add3_u32 v3, v12, v3, s0
	v_lshrrev_b32_e32 v3, 16, v3
	v_mov_b32_e32 v4, 0x7fc0
	v_cmp_o_f32_e32 vcc, v12, v12
	v_cndmask_b32_e32 v3, v4, v3, vcc
	global_store_dword v[0:1], v3, off
	s_mov_b64 s[0:1], 0
.LBB21_2185:
	s_mov_b64 s[6:7], 0
.LBB21_2186:
	s_and_b64 vcc, exec, s[6:7]
	s_cbranch_vccz .LBB21_2191
; %bb.2187:
	v_cmp_eq_u16_e32 vcc, 44, v2
	s_mov_b64 s[0:1], -1
	s_cbranch_vccz .LBB21_2191
; %bb.2188:
	v_bfe_u32 v3, v12, 23, 8
	s_movk_i32 s0, 0xff
	v_cmp_ne_u32_e32 vcc, s0, v3
	v_mov_b32_e32 v4, 0xff
	s_and_saveexec_b64 s[6:7], vcc
; %bb.2189:
	s_mov_b32 s0, 0x3fffff
	v_and_b32_e32 v5, 0x400000, v12
	v_and_or_b32 v3, v12, s0, v3
	v_cmp_ne_u32_e32 vcc, 0, v5
	v_cmp_ne_u32_e64 s[0:1], 0, v3
	s_and_b64 s[0:1], vcc, s[0:1]
	v_lshrrev_b32_e32 v4, 23, v12
	v_cndmask_b32_e64 v3, 0, 1, s[0:1]
	v_add_u32_e32 v4, v4, v3
; %bb.2190:
	s_or_b64 exec, exec, s[6:7]
	s_mov_b64 s[0:1], 0
	global_store_byte v[0:1], v4, off
.LBB21_2191:
	s_mov_b64 s[6:7], 0
.LBB21_2192:
	s_and_b64 vcc, exec, s[6:7]
	s_cbranch_vccz .LBB21_2195
; %bb.2193:
	v_cmp_eq_u16_e32 vcc, 29, v2
	s_mov_b64 s[0:1], -1
	s_cbranch_vccz .LBB21_2195
; %bb.2194:
	v_trunc_f32_e32 v3, v12
	v_mul_f32_e32 v4, 0x2f800000, v3
	v_floor_f32_e32 v4, v4
	v_fmac_f32_e32 v3, 0xcf800000, v4
	v_cvt_u32_f32_e32 v5, v4
	v_cvt_u32_f32_e32 v4, v3
	s_mov_b64 s[0:1], 0
	global_store_dwordx2 v[0:1], v[4:5], off
.LBB21_2195:
	s_mov_b64 s[6:7], 0
.LBB21_2196:
	s_and_b64 vcc, exec, s[6:7]
	s_cbranch_vccz .LBB21_2211
; %bb.2197:
	v_cmp_gt_i16_e32 vcc, 27, v2
	s_mov_b64 s[6:7], -1
	s_cbranch_vccnz .LBB21_2203
; %bb.2198:
	v_cmp_lt_i16_e32 vcc, 27, v2
	s_cbranch_vccz .LBB21_2200
; %bb.2199:
	v_cvt_u32_f32_e32 v3, v12
	s_mov_b64 s[6:7], 0
	global_store_dword v[0:1], v3, off
.LBB21_2200:
	s_andn2_b64 vcc, exec, s[6:7]
	s_cbranch_vccnz .LBB21_2202
; %bb.2201:
	v_cvt_u32_f32_e32 v3, v12
	global_store_short v[0:1], v3, off
.LBB21_2202:
	s_mov_b64 s[6:7], 0
.LBB21_2203:
	s_andn2_b64 vcc, exec, s[6:7]
	s_cbranch_vccnz .LBB21_2211
; %bb.2204:
	v_and_b32_e32 v3, 0x7fffffff, v12
	s_mov_b32 s6, 0x43800000
	v_cmp_gt_u32_e32 vcc, s6, v3
	v_mov_b32_e32 v4, 0x80
	s_and_saveexec_b64 s[6:7], vcc
	s_cbranch_execz .LBB21_2210
; %bb.2205:
	s_mov_b32 s8, 0x3bffffff
	v_cmp_lt_u32_e32 vcc, s8, v3
	s_mov_b64 s[8:9], 0
                                        ; implicit-def: $vgpr3
	s_and_saveexec_b64 s[10:11], vcc
	s_xor_b64 s[10:11], exec, s[10:11]
	s_cbranch_execz .LBB21_2261
; %bb.2206:
	v_bfe_u32 v3, v12, 20, 1
	s_mov_b32 s12, 0x487ffff
	v_add3_u32 v3, v12, v3, s12
	s_mov_b64 s[8:9], exec
	v_lshrrev_b32_e32 v3, 20, v3
	s_or_saveexec_b64 s[10:11], s[10:11]
                                        ; implicit-def: $sgpr12
	s_xor_b64 exec, exec, s[10:11]
	s_cbranch_execnz .LBB21_2262
.LBB21_2207:
	s_or_b64 exec, exec, s[10:11]
	v_mov_b32_e32 v4, s12
	s_and_saveexec_b64 s[10:11], s[8:9]
.LBB21_2208:
	v_lshrrev_b32_e32 v4, 24, v12
	s_movk_i32 s8, 0x80
	v_and_or_b32 v4, v4, s8, v3
.LBB21_2209:
	s_or_b64 exec, exec, s[10:11]
.LBB21_2210:
	s_or_b64 exec, exec, s[6:7]
	global_store_byte v[0:1], v4, off
.LBB21_2211:
	s_mov_b64 s[6:7], 0
.LBB21_2212:
	s_and_b64 vcc, exec, s[6:7]
	s_cbranch_vccz .LBB21_2252
; %bb.2213:
	v_cmp_lt_i16_e32 vcc, 22, v2
	s_mov_b64 s[4:5], -1
	s_cbranch_vccz .LBB21_2245
; %bb.2214:
	v_cmp_gt_i16_e32 vcc, 24, v2
	s_cbranch_vccnz .LBB21_2234
; %bb.2215:
	v_cmp_lt_i16_e32 vcc, 24, v2
	s_cbranch_vccz .LBB21_2223
; %bb.2216:
	v_and_b32_e32 v3, 0x7fffffff, v12
	s_mov_b32 s4, 0x47800000
	v_cmp_gt_u32_e32 vcc, s4, v3
	v_mov_b32_e32 v4, 0x80
	s_and_saveexec_b64 s[4:5], vcc
	s_cbranch_execz .LBB21_2222
; %bb.2217:
	s_mov_b32 s6, 0x37ffffff
	v_cmp_lt_u32_e32 vcc, s6, v3
	s_mov_b64 s[6:7], 0
                                        ; implicit-def: $vgpr3
	s_and_saveexec_b64 s[8:9], vcc
	s_xor_b64 s[8:9], exec, s[8:9]
	s_cbranch_execz .LBB21_2264
; %bb.2218:
	v_bfe_u32 v3, v12, 21, 1
	s_mov_b32 s10, 0x88fffff
	v_add3_u32 v3, v12, v3, s10
	s_mov_b64 s[6:7], exec
	v_lshrrev_b32_e32 v3, 21, v3
	s_or_saveexec_b64 s[8:9], s[8:9]
                                        ; implicit-def: $sgpr10
	s_xor_b64 exec, exec, s[8:9]
	s_cbranch_execnz .LBB21_2265
.LBB21_2219:
	s_or_b64 exec, exec, s[8:9]
	v_mov_b32_e32 v4, s10
	s_and_saveexec_b64 s[8:9], s[6:7]
.LBB21_2220:
	v_lshrrev_b32_e32 v4, 24, v12
	s_movk_i32 s6, 0x80
	v_and_or_b32 v4, v4, s6, v3
.LBB21_2221:
	s_or_b64 exec, exec, s[8:9]
.LBB21_2222:
	s_or_b64 exec, exec, s[4:5]
	s_mov_b64 s[4:5], 0
	global_store_byte v[0:1], v4, off
.LBB21_2223:
	s_and_b64 vcc, exec, s[4:5]
	s_cbranch_vccz .LBB21_2233
; %bb.2224:
	v_and_b32_e32 v4, 0x7fffffff, v12
	s_mov_b32 s4, 0x43f00000
	v_cmp_gt_u32_e32 vcc, s4, v4
                                        ; implicit-def: $vgpr3
	s_and_saveexec_b64 s[4:5], vcc
	s_xor_b64 s[4:5], exec, s[4:5]
	s_cbranch_execz .LBB21_2230
; %bb.2225:
	s_mov_b32 s6, 0x3c7fffff
	v_cmp_lt_u32_e32 vcc, s6, v4
                                        ; implicit-def: $vgpr3
	s_and_saveexec_b64 s[6:7], vcc
	s_xor_b64 s[6:7], exec, s[6:7]
; %bb.2226:
	v_bfe_u32 v3, v12, 20, 1
	s_mov_b32 s8, 0x407ffff
	v_add3_u32 v3, v12, v3, s8
	v_lshrrev_b32_e32 v4, 20, v3
	v_and_b32_e32 v3, 0xff00000, v3
	s_mov_b32 s8, 0x7f00000
	v_mov_b32_e32 v5, 0x7e
	v_cmp_ne_u32_e32 vcc, s8, v3
	v_cndmask_b32_e32 v3, v5, v4, vcc
; %bb.2227:
	s_andn2_saveexec_b64 s[6:7], s[6:7]
; %bb.2228:
	s_mov_b32 s8, 0x46800000
	v_add_f32_e64 v3, |v12|, s8
; %bb.2229:
	s_or_b64 exec, exec, s[6:7]
                                        ; implicit-def: $vgpr4
.LBB21_2230:
	s_andn2_saveexec_b64 s[4:5], s[4:5]
; %bb.2231:
	s_mov_b32 s6, 0x7f800000
	v_mov_b32_e32 v3, 0x7e
	v_mov_b32_e32 v5, 0x7f
	v_cmp_lt_u32_e32 vcc, s6, v4
	v_cndmask_b32_e32 v3, v3, v5, vcc
; %bb.2232:
	s_or_b64 exec, exec, s[4:5]
	v_lshrrev_b32_e32 v4, 24, v12
	s_movk_i32 s4, 0x80
	v_and_or_b32 v3, v4, s4, v3
	global_store_byte v[0:1], v3, off
.LBB21_2233:
	s_mov_b64 s[4:5], 0
.LBB21_2234:
	s_andn2_b64 vcc, exec, s[4:5]
	s_cbranch_vccnz .LBB21_2244
; %bb.2235:
	v_and_b32_e32 v4, 0x7fffffff, v12
	s_mov_b32 s4, 0x47800000
	v_cmp_gt_u32_e32 vcc, s4, v4
                                        ; implicit-def: $vgpr3
	s_and_saveexec_b64 s[4:5], vcc
	s_xor_b64 s[4:5], exec, s[4:5]
	s_cbranch_execz .LBB21_2241
; %bb.2236:
	s_mov_b32 s6, 0x387fffff
	v_cmp_lt_u32_e32 vcc, s6, v4
                                        ; implicit-def: $vgpr3
	s_and_saveexec_b64 s[6:7], vcc
	s_xor_b64 s[6:7], exec, s[6:7]
; %bb.2237:
	v_bfe_u32 v3, v12, 21, 1
	s_mov_b32 s8, 0x80fffff
	v_add3_u32 v3, v12, v3, s8
	v_lshrrev_b32_e32 v3, 21, v3
; %bb.2238:
	s_andn2_saveexec_b64 s[6:7], s[6:7]
; %bb.2239:
	s_mov_b32 s8, 0x43000000
	v_add_f32_e64 v3, |v12|, s8
; %bb.2240:
	s_or_b64 exec, exec, s[6:7]
                                        ; implicit-def: $vgpr4
.LBB21_2241:
	s_andn2_saveexec_b64 s[4:5], s[4:5]
; %bb.2242:
	s_mov_b32 s6, 0x7f800000
	v_mov_b32_e32 v3, 0x7c
	v_mov_b32_e32 v5, 0x7f
	v_cmp_lt_u32_e32 vcc, s6, v4
	v_cndmask_b32_e32 v3, v3, v5, vcc
; %bb.2243:
	s_or_b64 exec, exec, s[4:5]
	v_lshrrev_b32_e32 v4, 24, v12
	s_movk_i32 s4, 0x80
	v_and_or_b32 v3, v4, s4, v3
	global_store_byte v[0:1], v3, off
.LBB21_2244:
	s_mov_b64 s[4:5], 0
.LBB21_2245:
	s_andn2_b64 vcc, exec, s[4:5]
	s_mov_b64 s[4:5], 0
	s_cbranch_vccnz .LBB21_2252
; %bb.2246:
	v_cmp_lt_i16_e32 vcc, 14, v2
	s_mov_b64 s[6:7], -1
	s_cbranch_vccz .LBB21_2250
; %bb.2247:
	v_cmp_eq_u16_e32 vcc, 15, v2
	s_mov_b64 s[0:1], -1
	s_cbranch_vccz .LBB21_2249
; %bb.2248:
	v_bfe_u32 v3, v12, 16, 1
	s_movk_i32 s0, 0x7fff
	v_add3_u32 v3, v12, v3, s0
	v_lshrrev_b32_e32 v3, 16, v3
	v_mov_b32_e32 v4, 0x7fc0
	v_cmp_o_f32_e32 vcc, v12, v12
	v_cndmask_b32_e32 v3, v4, v3, vcc
	global_store_short v[0:1], v3, off
	s_mov_b64 s[0:1], 0
.LBB21_2249:
	s_mov_b64 s[6:7], 0
.LBB21_2250:
	s_and_b64 vcc, exec, s[6:7]
	s_cbranch_vccz .LBB21_2252
; %bb.2251:
	v_cmp_ne_u16_e64 s[0:1], 11, v2
	s_mov_b64 s[4:5], -1
.LBB21_2252:
	s_and_b64 vcc, exec, s[0:1]
	s_cbranch_vccnz .LBB21_2263
.LBB21_2253:
	s_mov_b64 s[0:1], 0
	s_branch .LBB21_1764
.LBB21_2254:
	s_mov_b64 s[0:1], 0
                                        ; implicit-def: $vgpr0_vgpr1
                                        ; implicit-def: $vgpr2
	s_branch .LBB21_1763
.LBB21_2255:
	s_mov_b64 s[4:5], 0
	s_mov_b64 s[0:1], -1
	s_branch .LBB21_1764
.LBB21_2256:
	s_or_saveexec_b64 s[12:13], s[12:13]
                                        ; implicit-def: $sgpr15
	s_xor_b64 exec, exec, s[12:13]
	s_cbranch_execz .LBB21_2088
.LBB21_2257:
	s_mov_b32 s15, 0x46000000
	v_add_f32_e64 v1, |v14|, s15
	v_and_b32_e32 v1, 0xff, v1
	v_cmp_ne_u32_e32 vcc, 0, v1
	s_andn2_b64 s[10:11], s[10:11], exec
	s_and_b64 s[16:17], vcc, exec
	s_mov_b32 s15, 0
	s_or_b64 s[10:11], s[10:11], s[16:17]
	s_or_b64 exec, exec, s[12:13]
	v_mov_b32_e32 v4, s15
	s_and_saveexec_b64 s[12:13], s[10:11]
	s_cbranch_execnz .LBB21_2089
	s_branch .LBB21_2090
.LBB21_2258:
	s_trap 2
	s_or_b64 s[2:3], s[2:3], exec
	s_cbranch_execz .LBB21_2136
	s_branch .LBB21_2137
.LBB21_2259:
	s_or_saveexec_b64 s[10:11], s[10:11]
                                        ; implicit-def: $sgpr12
	s_xor_b64 exec, exec, s[10:11]
	s_cbranch_execz .LBB21_2101
.LBB21_2260:
	s_mov_b32 s12, 0x42800000
	v_add_f32_e64 v1, |v14|, s12
	v_and_b32_e32 v1, 0xff, v1
	v_cmp_ne_u32_e32 vcc, 0, v1
	s_andn2_b64 s[6:7], s[6:7], exec
	s_and_b64 s[16:17], vcc, exec
	s_mov_b32 s12, 0
	s_or_b64 s[6:7], s[6:7], s[16:17]
	s_or_b64 exec, exec, s[10:11]
	v_mov_b32_e32 v4, s12
	s_and_saveexec_b64 s[10:11], s[6:7]
	s_cbranch_execnz .LBB21_2102
	s_branch .LBB21_2103
.LBB21_2261:
	s_or_saveexec_b64 s[10:11], s[10:11]
                                        ; implicit-def: $sgpr12
	s_xor_b64 exec, exec, s[10:11]
	s_cbranch_execz .LBB21_2207
.LBB21_2262:
	s_mov_b32 s12, 0x46000000
	v_add_f32_e64 v3, |v12|, s12
	v_and_b32_e32 v3, 0xff, v3
	v_cmp_ne_u32_e32 vcc, 0, v3
	s_andn2_b64 s[8:9], s[8:9], exec
	s_and_b64 s[14:15], vcc, exec
	s_mov_b32 s12, 0
	s_or_b64 s[8:9], s[8:9], s[14:15]
	s_or_b64 exec, exec, s[10:11]
	v_mov_b32_e32 v4, s12
	s_and_saveexec_b64 s[10:11], s[8:9]
	s_cbranch_execnz .LBB21_2208
	s_branch .LBB21_2209
.LBB21_2263:
	s_mov_b64 s[4:5], 0
	s_or_b64 s[2:3], s[2:3], exec
	s_trap 2
	s_branch .LBB21_2253
.LBB21_2264:
	s_or_saveexec_b64 s[8:9], s[8:9]
                                        ; implicit-def: $sgpr10
	s_xor_b64 exec, exec, s[8:9]
	s_cbranch_execz .LBB21_2219
.LBB21_2265:
	s_mov_b32 s10, 0x42800000
	v_add_f32_e64 v3, |v12|, s10
	v_and_b32_e32 v3, 0xff, v3
	v_cmp_ne_u32_e32 vcc, 0, v3
	s_andn2_b64 s[6:7], s[6:7], exec
	s_and_b64 s[12:13], vcc, exec
	s_mov_b32 s10, 0
	s_or_b64 s[6:7], s[6:7], s[12:13]
	s_or_b64 exec, exec, s[8:9]
	v_mov_b32_e32 v4, s10
	s_and_saveexec_b64 s[8:9], s[6:7]
	s_cbranch_execnz .LBB21_2220
	s_branch .LBB21_2221
	.section	.rodata,"a",@progbits
	.p2align	6, 0x0
	.amdhsa_kernel _ZN2at6native32elementwise_kernel_manual_unrollILi128ELi4EZNS0_15gpu_kernel_implIZZZNS0_12_GLOBAL__N_137scaled_modified_bessel_k0_kernel_cudaERNS_18TensorIteratorBaseEENKUlvE_clEvENKUlvE0_clEvEUlfE_EEvS5_RKT_EUlibE0_EEviT1_
		.amdhsa_group_segment_fixed_size 0
		.amdhsa_private_segment_fixed_size 0
		.amdhsa_kernarg_size 360
		.amdhsa_user_sgpr_count 6
		.amdhsa_user_sgpr_private_segment_buffer 1
		.amdhsa_user_sgpr_dispatch_ptr 0
		.amdhsa_user_sgpr_queue_ptr 0
		.amdhsa_user_sgpr_kernarg_segment_ptr 1
		.amdhsa_user_sgpr_dispatch_id 0
		.amdhsa_user_sgpr_flat_scratch_init 0
		.amdhsa_user_sgpr_kernarg_preload_length 0
		.amdhsa_user_sgpr_kernarg_preload_offset 0
		.amdhsa_user_sgpr_private_segment_size 0
		.amdhsa_uses_dynamic_stack 0
		.amdhsa_system_sgpr_private_segment_wavefront_offset 0
		.amdhsa_system_sgpr_workgroup_id_x 1
		.amdhsa_system_sgpr_workgroup_id_y 0
		.amdhsa_system_sgpr_workgroup_id_z 0
		.amdhsa_system_sgpr_workgroup_info 0
		.amdhsa_system_vgpr_workitem_id 0
		.amdhsa_next_free_vgpr 20
		.amdhsa_next_free_sgpr 76
		.amdhsa_accum_offset 20
		.amdhsa_reserve_vcc 1
		.amdhsa_reserve_flat_scratch 0
		.amdhsa_float_round_mode_32 0
		.amdhsa_float_round_mode_16_64 0
		.amdhsa_float_denorm_mode_32 3
		.amdhsa_float_denorm_mode_16_64 3
		.amdhsa_dx10_clamp 1
		.amdhsa_ieee_mode 1
		.amdhsa_fp16_overflow 0
		.amdhsa_tg_split 0
		.amdhsa_exception_fp_ieee_invalid_op 0
		.amdhsa_exception_fp_denorm_src 0
		.amdhsa_exception_fp_ieee_div_zero 0
		.amdhsa_exception_fp_ieee_overflow 0
		.amdhsa_exception_fp_ieee_underflow 0
		.amdhsa_exception_fp_ieee_inexact 0
		.amdhsa_exception_int_div_zero 0
	.end_amdhsa_kernel
	.section	.text._ZN2at6native32elementwise_kernel_manual_unrollILi128ELi4EZNS0_15gpu_kernel_implIZZZNS0_12_GLOBAL__N_137scaled_modified_bessel_k0_kernel_cudaERNS_18TensorIteratorBaseEENKUlvE_clEvENKUlvE0_clEvEUlfE_EEvS5_RKT_EUlibE0_EEviT1_,"axG",@progbits,_ZN2at6native32elementwise_kernel_manual_unrollILi128ELi4EZNS0_15gpu_kernel_implIZZZNS0_12_GLOBAL__N_137scaled_modified_bessel_k0_kernel_cudaERNS_18TensorIteratorBaseEENKUlvE_clEvENKUlvE0_clEvEUlfE_EEvS5_RKT_EUlibE0_EEviT1_,comdat
.Lfunc_end21:
	.size	_ZN2at6native32elementwise_kernel_manual_unrollILi128ELi4EZNS0_15gpu_kernel_implIZZZNS0_12_GLOBAL__N_137scaled_modified_bessel_k0_kernel_cudaERNS_18TensorIteratorBaseEENKUlvE_clEvENKUlvE0_clEvEUlfE_EEvS5_RKT_EUlibE0_EEviT1_, .Lfunc_end21-_ZN2at6native32elementwise_kernel_manual_unrollILi128ELi4EZNS0_15gpu_kernel_implIZZZNS0_12_GLOBAL__N_137scaled_modified_bessel_k0_kernel_cudaERNS_18TensorIteratorBaseEENKUlvE_clEvENKUlvE0_clEvEUlfE_EEvS5_RKT_EUlibE0_EEviT1_
                                        ; -- End function
	.section	.AMDGPU.csdata,"",@progbits
; Kernel info:
; codeLenInByte = 59916
; NumSgprs: 80
; NumVgprs: 20
; NumAgprs: 0
; TotalNumVgprs: 20
; ScratchSize: 0
; MemoryBound: 1
; FloatMode: 240
; IeeeMode: 1
; LDSByteSize: 0 bytes/workgroup (compile time only)
; SGPRBlocks: 9
; VGPRBlocks: 2
; NumSGPRsForWavesPerEU: 80
; NumVGPRsForWavesPerEU: 20
; AccumOffset: 20
; Occupancy: 8
; WaveLimiterHint : 1
; COMPUTE_PGM_RSRC2:SCRATCH_EN: 0
; COMPUTE_PGM_RSRC2:USER_SGPR: 6
; COMPUTE_PGM_RSRC2:TRAP_HANDLER: 0
; COMPUTE_PGM_RSRC2:TGID_X_EN: 1
; COMPUTE_PGM_RSRC2:TGID_Y_EN: 0
; COMPUTE_PGM_RSRC2:TGID_Z_EN: 0
; COMPUTE_PGM_RSRC2:TIDIG_COMP_CNT: 0
; COMPUTE_PGM_RSRC3_GFX90A:ACCUM_OFFSET: 4
; COMPUTE_PGM_RSRC3_GFX90A:TG_SPLIT: 0
	.text
	.p2alignl 6, 3212836864
	.fill 256, 4, 3212836864
	.type	__hip_cuid_d68db8e79583171,@object ; @__hip_cuid_d68db8e79583171
	.section	.bss,"aw",@nobits
	.globl	__hip_cuid_d68db8e79583171
__hip_cuid_d68db8e79583171:
	.byte	0                               ; 0x0
	.size	__hip_cuid_d68db8e79583171, 1

	.ident	"AMD clang version 19.0.0git (https://github.com/RadeonOpenCompute/llvm-project roc-6.4.0 25133 c7fe45cf4b819c5991fe208aaa96edf142730f1d)"
	.section	".note.GNU-stack","",@progbits
	.addrsig
	.addrsig_sym __hip_cuid_d68db8e79583171
	.amdgpu_metadata
---
amdhsa.kernels:
  - .agpr_count:     0
    .args:
      - .offset:         0
        .size:           4
        .value_kind:     by_value
      - .offset:         4
        .size:           1
        .value_kind:     by_value
      - .offset:         8
        .size:           16
        .value_kind:     by_value
    .group_segment_fixed_size: 0
    .kernarg_segment_align: 8
    .kernarg_segment_size: 24
    .language:       OpenCL C
    .language_version:
      - 2
      - 0
    .max_flat_workgroup_size: 256
    .name:           _ZN2at6native29vectorized_elementwise_kernelILi16EZZZNS0_12_GLOBAL__N_137scaled_modified_bessel_k0_kernel_cudaERNS_18TensorIteratorBaseEENKUlvE_clEvENKUlvE_clEvEUldE_St5arrayIPcLm2EEEEviT0_T1_
    .private_segment_fixed_size: 0
    .sgpr_count:     39
    .sgpr_spill_count: 0
    .symbol:         _ZN2at6native29vectorized_elementwise_kernelILi16EZZZNS0_12_GLOBAL__N_137scaled_modified_bessel_k0_kernel_cudaERNS_18TensorIteratorBaseEENKUlvE_clEvENKUlvE_clEvEUldE_St5arrayIPcLm2EEEEviT0_T1_.kd
    .uniform_work_group_size: 1
    .uses_dynamic_stack: false
    .vgpr_count:     40
    .vgpr_spill_count: 0
    .wavefront_size: 64
  - .agpr_count:     0
    .args:
      - .offset:         0
        .size:           4
        .value_kind:     by_value
      - .offset:         4
        .size:           1
        .value_kind:     by_value
      - .offset:         8
        .size:           16
        .value_kind:     by_value
    .group_segment_fixed_size: 0
    .kernarg_segment_align: 8
    .kernarg_segment_size: 24
    .language:       OpenCL C
    .language_version:
      - 2
      - 0
    .max_flat_workgroup_size: 256
    .name:           _ZN2at6native29vectorized_elementwise_kernelILi8EZZZNS0_12_GLOBAL__N_137scaled_modified_bessel_k0_kernel_cudaERNS_18TensorIteratorBaseEENKUlvE_clEvENKUlvE_clEvEUldE_St5arrayIPcLm2EEEEviT0_T1_
    .private_segment_fixed_size: 0
    .sgpr_count:     39
    .sgpr_spill_count: 0
    .symbol:         _ZN2at6native29vectorized_elementwise_kernelILi8EZZZNS0_12_GLOBAL__N_137scaled_modified_bessel_k0_kernel_cudaERNS_18TensorIteratorBaseEENKUlvE_clEvENKUlvE_clEvEUldE_St5arrayIPcLm2EEEEviT0_T1_.kd
    .uniform_work_group_size: 1
    .uses_dynamic_stack: false
    .vgpr_count:     40
    .vgpr_spill_count: 0
    .wavefront_size: 64
  - .agpr_count:     0
    .args:
      - .offset:         0
        .size:           4
        .value_kind:     by_value
      - .offset:         4
        .size:           1
        .value_kind:     by_value
      - .offset:         8
        .size:           16
        .value_kind:     by_value
    .group_segment_fixed_size: 0
    .kernarg_segment_align: 8
    .kernarg_segment_size: 24
    .language:       OpenCL C
    .language_version:
      - 2
      - 0
    .max_flat_workgroup_size: 256
    .name:           _ZN2at6native29vectorized_elementwise_kernelILi4EZZZNS0_12_GLOBAL__N_137scaled_modified_bessel_k0_kernel_cudaERNS_18TensorIteratorBaseEENKUlvE_clEvENKUlvE_clEvEUldE_St5arrayIPcLm2EEEEviT0_T1_
    .private_segment_fixed_size: 0
    .sgpr_count:     39
    .sgpr_spill_count: 0
    .symbol:         _ZN2at6native29vectorized_elementwise_kernelILi4EZZZNS0_12_GLOBAL__N_137scaled_modified_bessel_k0_kernel_cudaERNS_18TensorIteratorBaseEENKUlvE_clEvENKUlvE_clEvEUldE_St5arrayIPcLm2EEEEviT0_T1_.kd
    .uniform_work_group_size: 1
    .uses_dynamic_stack: false
    .vgpr_count:     40
    .vgpr_spill_count: 0
    .wavefront_size: 64
  - .agpr_count:     0
    .args:
      - .offset:         0
        .size:           4
        .value_kind:     by_value
      - .offset:         4
        .size:           1
        .value_kind:     by_value
      - .offset:         8
        .size:           16
        .value_kind:     by_value
    .group_segment_fixed_size: 0
    .kernarg_segment_align: 8
    .kernarg_segment_size: 24
    .language:       OpenCL C
    .language_version:
      - 2
      - 0
    .max_flat_workgroup_size: 256
    .name:           _ZN2at6native29vectorized_elementwise_kernelILi2EZZZNS0_12_GLOBAL__N_137scaled_modified_bessel_k0_kernel_cudaERNS_18TensorIteratorBaseEENKUlvE_clEvENKUlvE_clEvEUldE_St5arrayIPcLm2EEEEviT0_T1_
    .private_segment_fixed_size: 0
    .sgpr_count:     39
    .sgpr_spill_count: 0
    .symbol:         _ZN2at6native29vectorized_elementwise_kernelILi2EZZZNS0_12_GLOBAL__N_137scaled_modified_bessel_k0_kernel_cudaERNS_18TensorIteratorBaseEENKUlvE_clEvENKUlvE_clEvEUldE_St5arrayIPcLm2EEEEviT0_T1_.kd
    .uniform_work_group_size: 1
    .uses_dynamic_stack: false
    .vgpr_count:     40
    .vgpr_spill_count: 0
    .wavefront_size: 64
  - .agpr_count:     0
    .args:
      - .offset:         0
        .size:           4
        .value_kind:     by_value
      - .offset:         4
        .size:           1
        .value_kind:     by_value
      - .offset:         8
        .size:           16
        .value_kind:     by_value
      - .offset:         24
        .size:           1
        .value_kind:     by_value
      - .offset:         25
        .size:           1
        .value_kind:     by_value
      - .offset:         26
        .size:           1
        .value_kind:     by_value
      - .offset:         27
        .size:           1
        .value_kind:     by_value
    .group_segment_fixed_size: 0
    .kernarg_segment_align: 8
    .kernarg_segment_size: 28
    .language:       OpenCL C
    .language_version:
      - 2
      - 0
    .max_flat_workgroup_size: 256
    .name:           _ZN2at6native27unrolled_elementwise_kernelIZZZNS0_12_GLOBAL__N_137scaled_modified_bessel_k0_kernel_cudaERNS_18TensorIteratorBaseEENKUlvE_clEvENKUlvE_clEvEUldE_St5arrayIPcLm2EELi4E23TrivialOffsetCalculatorILi1EjESC_NS0_6memory15LoadWithoutCastENSD_16StoreWithoutCastEEEviT_T0_T2_T3_T4_T5_
    .private_segment_fixed_size: 0
    .sgpr_count:     39
    .sgpr_spill_count: 0
    .symbol:         _ZN2at6native27unrolled_elementwise_kernelIZZZNS0_12_GLOBAL__N_137scaled_modified_bessel_k0_kernel_cudaERNS_18TensorIteratorBaseEENKUlvE_clEvENKUlvE_clEvEUldE_St5arrayIPcLm2EELi4E23TrivialOffsetCalculatorILi1EjESC_NS0_6memory15LoadWithoutCastENSD_16StoreWithoutCastEEEviT_T0_T2_T3_T4_T5_.kd
    .uniform_work_group_size: 1
    .uses_dynamic_stack: false
    .vgpr_count:     40
    .vgpr_spill_count: 0
    .wavefront_size: 64
  - .agpr_count:     0
    .args:
      - .offset:         0
        .size:           4
        .value_kind:     by_value
      - .offset:         8
        .size:           352
        .value_kind:     by_value
    .group_segment_fixed_size: 0
    .kernarg_segment_align: 8
    .kernarg_segment_size: 360
    .language:       OpenCL C
    .language_version:
      - 2
      - 0
    .max_flat_workgroup_size: 128
    .name:           _ZN2at6native32elementwise_kernel_manual_unrollILi128ELi4EZNS0_22gpu_kernel_impl_nocastIZZZNS0_12_GLOBAL__N_137scaled_modified_bessel_k0_kernel_cudaERNS_18TensorIteratorBaseEENKUlvE_clEvENKUlvE_clEvEUldE_EEvS5_RKT_EUlibE_EEviT1_
    .private_segment_fixed_size: 0
    .sgpr_count:     64
    .sgpr_spill_count: 0
    .symbol:         _ZN2at6native32elementwise_kernel_manual_unrollILi128ELi4EZNS0_22gpu_kernel_impl_nocastIZZZNS0_12_GLOBAL__N_137scaled_modified_bessel_k0_kernel_cudaERNS_18TensorIteratorBaseEENKUlvE_clEvENKUlvE_clEvEUldE_EEvS5_RKT_EUlibE_EEviT1_.kd
    .uniform_work_group_size: 1
    .uses_dynamic_stack: false
    .vgpr_count:     38
    .vgpr_spill_count: 0
    .wavefront_size: 64
  - .agpr_count:     0
    .args:
      - .offset:         0
        .size:           4
        .value_kind:     by_value
      - .offset:         8
        .size:           32
        .value_kind:     by_value
    .group_segment_fixed_size: 0
    .kernarg_segment_align: 8
    .kernarg_segment_size: 40
    .language:       OpenCL C
    .language_version:
      - 2
      - 0
    .max_flat_workgroup_size: 128
    .name:           _ZN2at6native32elementwise_kernel_manual_unrollILi128ELi4EZNS0_15gpu_kernel_implIZZZNS0_12_GLOBAL__N_137scaled_modified_bessel_k0_kernel_cudaERNS_18TensorIteratorBaseEENKUlvE_clEvENKUlvE_clEvEUldE_EEvS5_RKT_EUlibE_EEviT1_
    .private_segment_fixed_size: 0
    .sgpr_count:     62
    .sgpr_spill_count: 0
    .symbol:         _ZN2at6native32elementwise_kernel_manual_unrollILi128ELi4EZNS0_15gpu_kernel_implIZZZNS0_12_GLOBAL__N_137scaled_modified_bessel_k0_kernel_cudaERNS_18TensorIteratorBaseEENKUlvE_clEvENKUlvE_clEvEUldE_EEvS5_RKT_EUlibE_EEviT1_.kd
    .uniform_work_group_size: 1
    .uses_dynamic_stack: false
    .vgpr_count:     33
    .vgpr_spill_count: 0
    .wavefront_size: 64
  - .agpr_count:     0
    .args:
      - .offset:         0
        .size:           4
        .value_kind:     by_value
      - .offset:         8
        .size:           352
        .value_kind:     by_value
    .group_segment_fixed_size: 0
    .kernarg_segment_align: 8
    .kernarg_segment_size: 360
    .language:       OpenCL C
    .language_version:
      - 2
      - 0
    .max_flat_workgroup_size: 128
    .name:           _ZN2at6native32elementwise_kernel_manual_unrollILi128ELi4EZNS0_15gpu_kernel_implIZZZNS0_12_GLOBAL__N_137scaled_modified_bessel_k0_kernel_cudaERNS_18TensorIteratorBaseEENKUlvE_clEvENKUlvE_clEvEUldE_EEvS5_RKT_EUlibE0_EEviT1_
    .private_segment_fixed_size: 0
    .sgpr_count:     84
    .sgpr_spill_count: 0
    .symbol:         _ZN2at6native32elementwise_kernel_manual_unrollILi128ELi4EZNS0_15gpu_kernel_implIZZZNS0_12_GLOBAL__N_137scaled_modified_bessel_k0_kernel_cudaERNS_18TensorIteratorBaseEENKUlvE_clEvENKUlvE_clEvEUldE_EEvS5_RKT_EUlibE0_EEviT1_.kd
    .uniform_work_group_size: 1
    .uses_dynamic_stack: false
    .vgpr_count:     42
    .vgpr_spill_count: 0
    .wavefront_size: 64
  - .agpr_count:     0
    .args:
      - .offset:         0
        .size:           4
        .value_kind:     by_value
      - .offset:         4
        .size:           1
        .value_kind:     by_value
      - .offset:         8
        .size:           16
        .value_kind:     by_value
    .group_segment_fixed_size: 0
    .kernarg_segment_align: 8
    .kernarg_segment_size: 24
    .language:       OpenCL C
    .language_version:
      - 2
      - 0
    .max_flat_workgroup_size: 256
    .name:           _ZN2at6native29vectorized_elementwise_kernelILi16EZZZNS0_12_GLOBAL__N_137scaled_modified_bessel_k0_kernel_cudaERNS_18TensorIteratorBaseEENKUlvE_clEvENKUlvE0_clEvEUlfE_St5arrayIPcLm2EEEEviT0_T1_
    .private_segment_fixed_size: 0
    .sgpr_count:     39
    .sgpr_spill_count: 0
    .symbol:         _ZN2at6native29vectorized_elementwise_kernelILi16EZZZNS0_12_GLOBAL__N_137scaled_modified_bessel_k0_kernel_cudaERNS_18TensorIteratorBaseEENKUlvE_clEvENKUlvE0_clEvEUlfE_St5arrayIPcLm2EEEEviT0_T1_.kd
    .uniform_work_group_size: 1
    .uses_dynamic_stack: false
    .vgpr_count:     32
    .vgpr_spill_count: 0
    .wavefront_size: 64
  - .agpr_count:     0
    .args:
      - .offset:         0
        .size:           4
        .value_kind:     by_value
      - .offset:         4
        .size:           1
        .value_kind:     by_value
      - .offset:         8
        .size:           16
        .value_kind:     by_value
    .group_segment_fixed_size: 0
    .kernarg_segment_align: 8
    .kernarg_segment_size: 24
    .language:       OpenCL C
    .language_version:
      - 2
      - 0
    .max_flat_workgroup_size: 256
    .name:           _ZN2at6native29vectorized_elementwise_kernelILi8EZZZNS0_12_GLOBAL__N_137scaled_modified_bessel_k0_kernel_cudaERNS_18TensorIteratorBaseEENKUlvE_clEvENKUlvE0_clEvEUlfE_St5arrayIPcLm2EEEEviT0_T1_
    .private_segment_fixed_size: 0
    .sgpr_count:     39
    .sgpr_spill_count: 0
    .symbol:         _ZN2at6native29vectorized_elementwise_kernelILi8EZZZNS0_12_GLOBAL__N_137scaled_modified_bessel_k0_kernel_cudaERNS_18TensorIteratorBaseEENKUlvE_clEvENKUlvE0_clEvEUlfE_St5arrayIPcLm2EEEEviT0_T1_.kd
    .uniform_work_group_size: 1
    .uses_dynamic_stack: false
    .vgpr_count:     32
    .vgpr_spill_count: 0
    .wavefront_size: 64
  - .agpr_count:     0
    .args:
      - .offset:         0
        .size:           4
        .value_kind:     by_value
      - .offset:         4
        .size:           1
        .value_kind:     by_value
      - .offset:         8
        .size:           16
        .value_kind:     by_value
    .group_segment_fixed_size: 0
    .kernarg_segment_align: 8
    .kernarg_segment_size: 24
    .language:       OpenCL C
    .language_version:
      - 2
      - 0
    .max_flat_workgroup_size: 256
    .name:           _ZN2at6native29vectorized_elementwise_kernelILi4EZZZNS0_12_GLOBAL__N_137scaled_modified_bessel_k0_kernel_cudaERNS_18TensorIteratorBaseEENKUlvE_clEvENKUlvE0_clEvEUlfE_St5arrayIPcLm2EEEEviT0_T1_
    .private_segment_fixed_size: 0
    .sgpr_count:     39
    .sgpr_spill_count: 0
    .symbol:         _ZN2at6native29vectorized_elementwise_kernelILi4EZZZNS0_12_GLOBAL__N_137scaled_modified_bessel_k0_kernel_cudaERNS_18TensorIteratorBaseEENKUlvE_clEvENKUlvE0_clEvEUlfE_St5arrayIPcLm2EEEEviT0_T1_.kd
    .uniform_work_group_size: 1
    .uses_dynamic_stack: false
    .vgpr_count:     32
    .vgpr_spill_count: 0
    .wavefront_size: 64
  - .agpr_count:     0
    .args:
      - .offset:         0
        .size:           4
        .value_kind:     by_value
      - .offset:         4
        .size:           1
        .value_kind:     by_value
      - .offset:         8
        .size:           16
        .value_kind:     by_value
    .group_segment_fixed_size: 0
    .kernarg_segment_align: 8
    .kernarg_segment_size: 24
    .language:       OpenCL C
    .language_version:
      - 2
      - 0
    .max_flat_workgroup_size: 256
    .name:           _ZN2at6native29vectorized_elementwise_kernelILi2EZZZNS0_12_GLOBAL__N_137scaled_modified_bessel_k0_kernel_cudaERNS_18TensorIteratorBaseEENKUlvE_clEvENKUlvE0_clEvEUlfE_St5arrayIPcLm2EEEEviT0_T1_
    .private_segment_fixed_size: 0
    .sgpr_count:     39
    .sgpr_spill_count: 0
    .symbol:         _ZN2at6native29vectorized_elementwise_kernelILi2EZZZNS0_12_GLOBAL__N_137scaled_modified_bessel_k0_kernel_cudaERNS_18TensorIteratorBaseEENKUlvE_clEvENKUlvE0_clEvEUlfE_St5arrayIPcLm2EEEEviT0_T1_.kd
    .uniform_work_group_size: 1
    .uses_dynamic_stack: false
    .vgpr_count:     32
    .vgpr_spill_count: 0
    .wavefront_size: 64
  - .agpr_count:     0
    .args:
      - .offset:         0
        .size:           4
        .value_kind:     by_value
      - .offset:         4
        .size:           1
        .value_kind:     by_value
      - .offset:         8
        .size:           16
        .value_kind:     by_value
      - .offset:         24
        .size:           1
        .value_kind:     by_value
      - .offset:         25
        .size:           1
        .value_kind:     by_value
      - .offset:         26
        .size:           1
        .value_kind:     by_value
      - .offset:         27
        .size:           1
        .value_kind:     by_value
    .group_segment_fixed_size: 0
    .kernarg_segment_align: 8
    .kernarg_segment_size: 28
    .language:       OpenCL C
    .language_version:
      - 2
      - 0
    .max_flat_workgroup_size: 256
    .name:           _ZN2at6native27unrolled_elementwise_kernelIZZZNS0_12_GLOBAL__N_137scaled_modified_bessel_k0_kernel_cudaERNS_18TensorIteratorBaseEENKUlvE_clEvENKUlvE0_clEvEUlfE_St5arrayIPcLm2EELi4E23TrivialOffsetCalculatorILi1EjESC_NS0_6memory15LoadWithoutCastENSD_16StoreWithoutCastEEEviT_T0_T2_T3_T4_T5_
    .private_segment_fixed_size: 0
    .sgpr_count:     39
    .sgpr_spill_count: 0
    .symbol:         _ZN2at6native27unrolled_elementwise_kernelIZZZNS0_12_GLOBAL__N_137scaled_modified_bessel_k0_kernel_cudaERNS_18TensorIteratorBaseEENKUlvE_clEvENKUlvE0_clEvEUlfE_St5arrayIPcLm2EELi4E23TrivialOffsetCalculatorILi1EjESC_NS0_6memory15LoadWithoutCastENSD_16StoreWithoutCastEEEviT_T0_T2_T3_T4_T5_.kd
    .uniform_work_group_size: 1
    .uses_dynamic_stack: false
    .vgpr_count:     32
    .vgpr_spill_count: 0
    .wavefront_size: 64
  - .agpr_count:     0
    .args:
      - .offset:         0
        .size:           4
        .value_kind:     by_value
      - .offset:         8
        .size:           352
        .value_kind:     by_value
    .group_segment_fixed_size: 0
    .kernarg_segment_align: 8
    .kernarg_segment_size: 360
    .language:       OpenCL C
    .language_version:
      - 2
      - 0
    .max_flat_workgroup_size: 128
    .name:           _ZN2at6native32elementwise_kernel_manual_unrollILi128ELi4EZNS0_22gpu_kernel_impl_nocastIZZZNS0_12_GLOBAL__N_137scaled_modified_bessel_k0_kernel_cudaERNS_18TensorIteratorBaseEENKUlvE_clEvENKUlvE0_clEvEUlfE_EEvS5_RKT_EUlibE_EEviT1_
    .private_segment_fixed_size: 0
    .sgpr_count:     64
    .sgpr_spill_count: 0
    .symbol:         _ZN2at6native32elementwise_kernel_manual_unrollILi128ELi4EZNS0_22gpu_kernel_impl_nocastIZZZNS0_12_GLOBAL__N_137scaled_modified_bessel_k0_kernel_cudaERNS_18TensorIteratorBaseEENKUlvE_clEvENKUlvE0_clEvEUlfE_EEvS5_RKT_EUlibE_EEviT1_.kd
    .uniform_work_group_size: 1
    .uses_dynamic_stack: false
    .vgpr_count:     18
    .vgpr_spill_count: 0
    .wavefront_size: 64
  - .agpr_count:     0
    .args:
      - .offset:         0
        .size:           4
        .value_kind:     by_value
      - .offset:         8
        .size:           32
        .value_kind:     by_value
    .group_segment_fixed_size: 0
    .kernarg_segment_align: 8
    .kernarg_segment_size: 40
    .language:       OpenCL C
    .language_version:
      - 2
      - 0
    .max_flat_workgroup_size: 128
    .name:           _ZN2at6native32elementwise_kernel_manual_unrollILi128ELi4EZNS0_15gpu_kernel_implIZZZNS0_12_GLOBAL__N_137scaled_modified_bessel_k0_kernel_cudaERNS_18TensorIteratorBaseEENKUlvE_clEvENKUlvE0_clEvEUlfE_EEvS5_RKT_EUlibE_EEviT1_
    .private_segment_fixed_size: 0
    .sgpr_count:     46
    .sgpr_spill_count: 0
    .symbol:         _ZN2at6native32elementwise_kernel_manual_unrollILi128ELi4EZNS0_15gpu_kernel_implIZZZNS0_12_GLOBAL__N_137scaled_modified_bessel_k0_kernel_cudaERNS_18TensorIteratorBaseEENKUlvE_clEvENKUlvE0_clEvEUlfE_EEvS5_RKT_EUlibE_EEviT1_.kd
    .uniform_work_group_size: 1
    .uses_dynamic_stack: false
    .vgpr_count:     16
    .vgpr_spill_count: 0
    .wavefront_size: 64
  - .agpr_count:     0
    .args:
      - .offset:         0
        .size:           4
        .value_kind:     by_value
      - .offset:         8
        .size:           352
        .value_kind:     by_value
    .group_segment_fixed_size: 0
    .kernarg_segment_align: 8
    .kernarg_segment_size: 360
    .language:       OpenCL C
    .language_version:
      - 2
      - 0
    .max_flat_workgroup_size: 128
    .name:           _ZN2at6native32elementwise_kernel_manual_unrollILi128ELi4EZNS0_15gpu_kernel_implIZZZNS0_12_GLOBAL__N_137scaled_modified_bessel_k0_kernel_cudaERNS_18TensorIteratorBaseEENKUlvE_clEvENKUlvE0_clEvEUlfE_EEvS5_RKT_EUlibE0_EEviT1_
    .private_segment_fixed_size: 0
    .sgpr_count:     80
    .sgpr_spill_count: 0
    .symbol:         _ZN2at6native32elementwise_kernel_manual_unrollILi128ELi4EZNS0_15gpu_kernel_implIZZZNS0_12_GLOBAL__N_137scaled_modified_bessel_k0_kernel_cudaERNS_18TensorIteratorBaseEENKUlvE_clEvENKUlvE0_clEvEUlfE_EEvS5_RKT_EUlibE0_EEviT1_.kd
    .uniform_work_group_size: 1
    .uses_dynamic_stack: false
    .vgpr_count:     20
    .vgpr_spill_count: 0
    .wavefront_size: 64
amdhsa.target:   amdgcn-amd-amdhsa--gfx90a
amdhsa.version:
  - 1
  - 2
...

	.end_amdgpu_metadata
